;; amdgpu-corpus repo=ROCm/rocFFT kind=compiled arch=gfx1030 opt=O3
	.text
	.amdgcn_target "amdgcn-amd-amdhsa--gfx1030"
	.amdhsa_code_object_version 6
	.protected	fft_rtc_back_len3645_factors_5_3_3_3_3_3_3_wgs_243_tpt_243_halfLds_sp_op_CI_CI_unitstride_sbrr_dirReg ; -- Begin function fft_rtc_back_len3645_factors_5_3_3_3_3_3_3_wgs_243_tpt_243_halfLds_sp_op_CI_CI_unitstride_sbrr_dirReg
	.globl	fft_rtc_back_len3645_factors_5_3_3_3_3_3_3_wgs_243_tpt_243_halfLds_sp_op_CI_CI_unitstride_sbrr_dirReg
	.p2align	8
	.type	fft_rtc_back_len3645_factors_5_3_3_3_3_3_3_wgs_243_tpt_243_halfLds_sp_op_CI_CI_unitstride_sbrr_dirReg,@function
fft_rtc_back_len3645_factors_5_3_3_3_3_3_3_wgs_243_tpt_243_halfLds_sp_op_CI_CI_unitstride_sbrr_dirReg: ; @fft_rtc_back_len3645_factors_5_3_3_3_3_3_3_wgs_243_tpt_243_halfLds_sp_op_CI_CI_unitstride_sbrr_dirReg
; %bb.0:
	s_clause 0x2
	s_load_dwordx4 s[12:15], s[4:5], 0x0
	s_load_dwordx4 s[8:11], s[4:5], 0x58
	;; [unrolled: 1-line block ×3, first 2 shown]
	v_mul_u32_u24_e32 v2, 0x10e, v0
	v_mov_b32_e32 v1, 0
	v_mov_b32_e32 v4, 0
	;; [unrolled: 1-line block ×3, first 2 shown]
	v_add_nc_u32_sdwa v6, s6, v2 dst_sel:DWORD dst_unused:UNUSED_PAD src0_sel:DWORD src1_sel:WORD_1
	v_mov_b32_e32 v7, v1
	s_waitcnt lgkmcnt(0)
	v_cmp_lt_u64_e64 s0, s[14:15], 2
	s_and_b32 vcc_lo, exec_lo, s0
	s_cbranch_vccnz .LBB0_8
; %bb.1:
	s_load_dwordx2 s[0:1], s[4:5], 0x10
	v_mov_b32_e32 v4, 0
	v_mov_b32_e32 v5, 0
	s_add_u32 s2, s18, 8
	s_addc_u32 s3, s19, 0
	s_add_u32 s6, s16, 8
	s_addc_u32 s7, s17, 0
	v_mov_b32_e32 v9, v5
	v_mov_b32_e32 v8, v4
	s_mov_b64 s[22:23], 1
	s_waitcnt lgkmcnt(0)
	s_add_u32 s20, s0, 8
	s_addc_u32 s21, s1, 0
.LBB0_2:                                ; =>This Inner Loop Header: Depth=1
	s_load_dwordx2 s[24:25], s[20:21], 0x0
                                        ; implicit-def: $vgpr10_vgpr11
	s_mov_b32 s0, exec_lo
	s_waitcnt lgkmcnt(0)
	v_or_b32_e32 v2, s25, v7
	v_cmpx_ne_u64_e32 0, v[1:2]
	s_xor_b32 s1, exec_lo, s0
	s_cbranch_execz .LBB0_4
; %bb.3:                                ;   in Loop: Header=BB0_2 Depth=1
	v_cvt_f32_u32_e32 v2, s24
	v_cvt_f32_u32_e32 v3, s25
	s_sub_u32 s0, 0, s24
	s_subb_u32 s26, 0, s25
	v_fmac_f32_e32 v2, 0x4f800000, v3
	v_rcp_f32_e32 v2, v2
	v_mul_f32_e32 v2, 0x5f7ffffc, v2
	v_mul_f32_e32 v3, 0x2f800000, v2
	v_trunc_f32_e32 v3, v3
	v_fmac_f32_e32 v2, 0xcf800000, v3
	v_cvt_u32_f32_e32 v3, v3
	v_cvt_u32_f32_e32 v2, v2
	v_mul_lo_u32 v10, s0, v3
	v_mul_hi_u32 v11, s0, v2
	v_mul_lo_u32 v12, s26, v2
	v_add_nc_u32_e32 v10, v11, v10
	v_mul_lo_u32 v11, s0, v2
	v_add_nc_u32_e32 v10, v10, v12
	v_mul_hi_u32 v12, v2, v11
	v_mul_lo_u32 v13, v2, v10
	v_mul_hi_u32 v14, v2, v10
	v_mul_hi_u32 v15, v3, v11
	v_mul_lo_u32 v11, v3, v11
	v_mul_hi_u32 v16, v3, v10
	v_mul_lo_u32 v10, v3, v10
	v_add_co_u32 v12, vcc_lo, v12, v13
	v_add_co_ci_u32_e32 v13, vcc_lo, 0, v14, vcc_lo
	v_add_co_u32 v11, vcc_lo, v12, v11
	v_add_co_ci_u32_e32 v11, vcc_lo, v13, v15, vcc_lo
	v_add_co_ci_u32_e32 v12, vcc_lo, 0, v16, vcc_lo
	v_add_co_u32 v10, vcc_lo, v11, v10
	v_add_co_ci_u32_e32 v11, vcc_lo, 0, v12, vcc_lo
	v_add_co_u32 v2, vcc_lo, v2, v10
	v_add_co_ci_u32_e32 v3, vcc_lo, v3, v11, vcc_lo
	v_mul_hi_u32 v10, s0, v2
	v_mul_lo_u32 v12, s26, v2
	v_mul_lo_u32 v11, s0, v3
	v_add_nc_u32_e32 v10, v10, v11
	v_mul_lo_u32 v11, s0, v2
	v_add_nc_u32_e32 v10, v10, v12
	v_mul_hi_u32 v12, v2, v11
	v_mul_lo_u32 v13, v2, v10
	v_mul_hi_u32 v14, v2, v10
	v_mul_hi_u32 v15, v3, v11
	v_mul_lo_u32 v11, v3, v11
	v_mul_hi_u32 v16, v3, v10
	v_mul_lo_u32 v10, v3, v10
	v_add_co_u32 v12, vcc_lo, v12, v13
	v_add_co_ci_u32_e32 v13, vcc_lo, 0, v14, vcc_lo
	v_add_co_u32 v11, vcc_lo, v12, v11
	v_add_co_ci_u32_e32 v11, vcc_lo, v13, v15, vcc_lo
	v_add_co_ci_u32_e32 v12, vcc_lo, 0, v16, vcc_lo
	v_add_co_u32 v10, vcc_lo, v11, v10
	v_add_co_ci_u32_e32 v11, vcc_lo, 0, v12, vcc_lo
	v_add_co_u32 v10, vcc_lo, v2, v10
	v_add_co_ci_u32_e32 v12, vcc_lo, v3, v11, vcc_lo
	v_mul_hi_u32 v14, v6, v10
	v_mad_u64_u32 v[10:11], null, v7, v10, 0
	v_mad_u64_u32 v[2:3], null, v6, v12, 0
	;; [unrolled: 1-line block ×3, first 2 shown]
	v_add_co_u32 v2, vcc_lo, v14, v2
	v_add_co_ci_u32_e32 v3, vcc_lo, 0, v3, vcc_lo
	v_add_co_u32 v2, vcc_lo, v2, v10
	v_add_co_ci_u32_e32 v2, vcc_lo, v3, v11, vcc_lo
	v_add_co_ci_u32_e32 v3, vcc_lo, 0, v13, vcc_lo
	v_add_co_u32 v10, vcc_lo, v2, v12
	v_add_co_ci_u32_e32 v11, vcc_lo, 0, v3, vcc_lo
	v_mul_lo_u32 v12, s25, v10
	v_mad_u64_u32 v[2:3], null, s24, v10, 0
	v_mul_lo_u32 v13, s24, v11
	v_sub_co_u32 v2, vcc_lo, v6, v2
	v_add3_u32 v3, v3, v13, v12
	v_sub_nc_u32_e32 v12, v7, v3
	v_subrev_co_ci_u32_e64 v12, s0, s25, v12, vcc_lo
	v_add_co_u32 v13, s0, v10, 2
	v_add_co_ci_u32_e64 v14, s0, 0, v11, s0
	v_sub_co_u32 v15, s0, v2, s24
	v_sub_co_ci_u32_e32 v3, vcc_lo, v7, v3, vcc_lo
	v_subrev_co_ci_u32_e64 v12, s0, 0, v12, s0
	v_cmp_le_u32_e32 vcc_lo, s24, v15
	v_cmp_eq_u32_e64 s0, s25, v3
	v_cndmask_b32_e64 v15, 0, -1, vcc_lo
	v_cmp_le_u32_e32 vcc_lo, s25, v12
	v_cndmask_b32_e64 v16, 0, -1, vcc_lo
	v_cmp_le_u32_e32 vcc_lo, s24, v2
	;; [unrolled: 2-line block ×3, first 2 shown]
	v_cndmask_b32_e64 v17, 0, -1, vcc_lo
	v_cmp_eq_u32_e32 vcc_lo, s25, v12
	v_cndmask_b32_e64 v2, v17, v2, s0
	v_cndmask_b32_e32 v12, v16, v15, vcc_lo
	v_add_co_u32 v15, vcc_lo, v10, 1
	v_add_co_ci_u32_e32 v16, vcc_lo, 0, v11, vcc_lo
	v_cmp_ne_u32_e32 vcc_lo, 0, v12
	v_cndmask_b32_e32 v3, v16, v14, vcc_lo
	v_cndmask_b32_e32 v12, v15, v13, vcc_lo
	v_cmp_ne_u32_e32 vcc_lo, 0, v2
	v_cndmask_b32_e32 v11, v11, v3, vcc_lo
	v_cndmask_b32_e32 v10, v10, v12, vcc_lo
.LBB0_4:                                ;   in Loop: Header=BB0_2 Depth=1
	s_andn2_saveexec_b32 s0, s1
	s_cbranch_execz .LBB0_6
; %bb.5:                                ;   in Loop: Header=BB0_2 Depth=1
	v_cvt_f32_u32_e32 v2, s24
	s_sub_i32 s1, 0, s24
	v_rcp_iflag_f32_e32 v2, v2
	v_mul_f32_e32 v2, 0x4f7ffffe, v2
	v_cvt_u32_f32_e32 v2, v2
	v_mul_lo_u32 v3, s1, v2
	v_mul_hi_u32 v3, v2, v3
	v_add_nc_u32_e32 v2, v2, v3
	v_mul_hi_u32 v2, v6, v2
	v_mul_lo_u32 v3, v2, s24
	v_add_nc_u32_e32 v10, 1, v2
	v_sub_nc_u32_e32 v3, v6, v3
	v_subrev_nc_u32_e32 v11, s24, v3
	v_cmp_le_u32_e32 vcc_lo, s24, v3
	v_cndmask_b32_e32 v3, v3, v11, vcc_lo
	v_cndmask_b32_e32 v2, v2, v10, vcc_lo
	v_mov_b32_e32 v11, v1
	v_cmp_le_u32_e32 vcc_lo, s24, v3
	v_add_nc_u32_e32 v10, 1, v2
	v_cndmask_b32_e32 v10, v2, v10, vcc_lo
.LBB0_6:                                ;   in Loop: Header=BB0_2 Depth=1
	s_or_b32 exec_lo, exec_lo, s0
	v_mul_lo_u32 v12, v11, s24
	v_mul_lo_u32 v13, v10, s25
	s_load_dwordx2 s[0:1], s[6:7], 0x0
	v_mad_u64_u32 v[2:3], null, v10, s24, 0
	s_load_dwordx2 s[24:25], s[2:3], 0x0
	s_add_u32 s22, s22, 1
	s_addc_u32 s23, s23, 0
	s_add_u32 s2, s2, 8
	s_addc_u32 s3, s3, 0
	s_add_u32 s6, s6, 8
	v_add3_u32 v3, v3, v13, v12
	v_sub_co_u32 v2, vcc_lo, v6, v2
	s_addc_u32 s7, s7, 0
	s_add_u32 s20, s20, 8
	v_sub_co_ci_u32_e32 v3, vcc_lo, v7, v3, vcc_lo
	s_addc_u32 s21, s21, 0
	s_waitcnt lgkmcnt(0)
	v_mul_lo_u32 v6, s0, v3
	v_mul_lo_u32 v7, s1, v2
	v_mad_u64_u32 v[4:5], null, s0, v2, v[4:5]
	v_mul_lo_u32 v3, s24, v3
	v_mul_lo_u32 v12, s25, v2
	v_mad_u64_u32 v[8:9], null, s24, v2, v[8:9]
	v_cmp_ge_u64_e64 s0, s[22:23], s[14:15]
	v_add3_u32 v5, v7, v5, v6
	v_add3_u32 v9, v12, v9, v3
	s_and_b32 vcc_lo, exec_lo, s0
	s_cbranch_vccnz .LBB0_9
; %bb.7:                                ;   in Loop: Header=BB0_2 Depth=1
	v_mov_b32_e32 v6, v10
	v_mov_b32_e32 v7, v11
	s_branch .LBB0_2
.LBB0_8:
	v_mov_b32_e32 v9, v5
	v_mov_b32_e32 v11, v7
	;; [unrolled: 1-line block ×4, first 2 shown]
.LBB0_9:
	s_load_dwordx2 s[0:1], s[4:5], 0x28
	v_mul_hi_u32 v2, 0x10db20b, v0
	s_lshl_b64 s[4:5], s[14:15], 3
                                        ; implicit-def: $vgpr36
	s_add_u32 s2, s18, s4
	s_addc_u32 s3, s19, s5
	s_waitcnt lgkmcnt(0)
	v_cmp_gt_u64_e32 vcc_lo, s[0:1], v[10:11]
	v_cmp_le_u64_e64 s0, s[0:1], v[10:11]
	s_and_saveexec_b32 s1, s0
	s_xor_b32 s0, exec_lo, s1
; %bb.10:
	v_mul_u32_u24_e32 v1, 0xf3, v2
                                        ; implicit-def: $vgpr2
                                        ; implicit-def: $vgpr4_vgpr5
	v_sub_nc_u32_e32 v36, v0, v1
                                        ; implicit-def: $vgpr0
; %bb.11:
	s_or_saveexec_b32 s1, s0
                                        ; implicit-def: $vgpr19
                                        ; implicit-def: $vgpr6
                                        ; implicit-def: $vgpr17
                                        ; implicit-def: $vgpr15
                                        ; implicit-def: $vgpr13
                                        ; implicit-def: $vgpr27
                                        ; implicit-def: $vgpr25
                                        ; implicit-def: $vgpr23
                                        ; implicit-def: $vgpr21
                                        ; implicit-def: $vgpr3
                                        ; implicit-def: $vgpr33
                                        ; implicit-def: $vgpr31
                                        ; implicit-def: $vgpr29
                                        ; implicit-def: $vgpr35
                                        ; implicit-def: $vgpr1
	s_xor_b32 exec_lo, exec_lo, s1
	s_cbranch_execz .LBB0_13
; %bb.12:
	s_add_u32 s4, s16, s4
	s_addc_u32 s5, s17, s5
	v_mul_u32_u24_e32 v12, 0xf3, v2
	s_load_dwordx2 s[4:5], s[4:5], 0x0
	v_sub_nc_u32_e32 v36, v0, v12
	s_waitcnt lgkmcnt(0)
	v_mul_lo_u32 v1, s5, v10
	v_mul_lo_u32 v3, s4, v11
	v_mad_u64_u32 v[6:7], null, s4, v10, 0
	v_add3_u32 v7, v7, v3, v1
	v_lshlrev_b64 v[3:4], 3, v[4:5]
	v_lshlrev_b64 v[1:2], 3, v[6:7]
	v_add_co_u32 v0, s0, s8, v1
	v_add_co_ci_u32_e64 v1, s0, s9, v2, s0
	v_lshlrev_b32_e32 v2, 3, v36
	v_add_co_u32 v0, s0, v0, v3
	v_add_co_ci_u32_e64 v1, s0, v1, v4, s0
	v_add_co_u32 v4, s0, v0, v2
	v_add_co_ci_u32_e64 v5, s0, 0, v1, s0
	v_add_co_u32 v2, s0, 0x1000, v4
	v_add_co_ci_u32_e64 v3, s0, 0, v5, s0
	v_add_co_u32 v6, s0, 0x2800, v4
	v_add_co_ci_u32_e64 v7, s0, 0, v5, s0
	v_add_co_u32 v12, s0, 0x4000, v4
	v_add_co_ci_u32_e64 v13, s0, 0, v5, s0
	v_add_co_u32 v14, s0, 0x5800, v4
	v_add_co_ci_u32_e64 v15, s0, 0, v5, s0
	v_add_co_u32 v16, s0, 0x1800, v4
	v_add_co_ci_u32_e64 v17, s0, 0, v5, s0
	v_add_co_u32 v18, s0, 0x3000, v4
	v_add_co_ci_u32_e64 v19, s0, 0, v5, s0
	v_add_co_u32 v24, s0, 0x4800, v4
	v_add_co_ci_u32_e64 v25, s0, 0, v5, s0
	s_clause 0x7
	global_load_dwordx2 v[0:1], v[4:5], off
	global_load_dwordx2 v[28:29], v[6:7], off offset:1424
	global_load_dwordx2 v[34:35], v[2:3], off offset:1736
	;; [unrolled: 1-line block ×7, first 2 shown]
	v_add_co_u32 v6, s0, 0x6000, v4
	v_add_co_ci_u32_e64 v7, s0, 0, v5, s0
	v_add_co_u32 v12, s0, 0x800, v4
	v_add_co_ci_u32_e64 v13, s0, 0, v5, s0
	;; [unrolled: 2-line block ×6, first 2 shown]
	s_clause 0x6
	global_load_dwordx2 v[24:25], v[24:25], off offset:1008
	global_load_dwordx2 v[26:27], v[6:7], off offset:696
	;; [unrolled: 1-line block ×7, first 2 shown]
.LBB0_13:
	s_or_b32 exec_lo, exec_lo, s1
	s_waitcnt vmcnt(10)
	v_add_f32_e32 v4, v30, v28
	v_add_f32_e32 v7, v34, v0
	s_waitcnt vmcnt(9)
	v_sub_f32_e32 v37, v35, v33
	v_add_f32_e32 v41, v32, v34
	v_sub_f32_e32 v38, v29, v31
	v_fma_f32 v4, -0.5, v4, v0
	v_add_f32_e32 v7, v28, v7
	v_add_f32_e32 v44, v35, v1
	v_fmac_f32_e32 v0, -0.5, v41
	v_sub_f32_e32 v39, v34, v28
	v_fmamk_f32 v42, v37, 0xbf737871, v4
	v_fmac_f32_e32 v4, 0x3f737871, v37
	v_sub_f32_e32 v40, v32, v30
	v_add_f32_e32 v7, v30, v7
	v_fmamk_f32 v41, v38, 0x3f737871, v0
	v_fmac_f32_e32 v42, 0xbf167918, v38
	v_fmac_f32_e32 v4, 0x3f167918, v38
	v_add_f32_e32 v45, v31, v29
	v_fmac_f32_e32 v0, 0xbf737871, v38
	v_add_f32_e32 v38, v29, v44
	v_sub_f32_e32 v43, v28, v34
	v_add_f32_e32 v39, v40, v39
	v_sub_f32_e32 v40, v30, v32
	v_add_f32_e32 v7, v32, v7
	v_fmac_f32_e32 v41, 0xbf167918, v37
	v_fma_f32 v46, -0.5, v45, v1
	v_sub_f32_e32 v32, v34, v32
	v_fmac_f32_e32 v0, 0x3f167918, v37
	v_add_f32_e32 v34, v31, v38
	v_add_f32_e32 v37, v33, v35
	v_fmac_f32_e32 v42, 0x3e9e377a, v39
	v_add_f32_e32 v40, v40, v43
	v_fmac_f32_e32 v4, 0x3e9e377a, v39
	v_fmamk_f32 v38, v32, 0x3f737871, v46
	v_sub_f32_e32 v28, v28, v30
	v_sub_f32_e32 v30, v35, v29
	;; [unrolled: 1-line block ×3, first 2 shown]
	v_fmac_f32_e32 v1, -0.5, v37
	v_add_f32_e32 v47, v33, v34
	v_fmac_f32_e32 v46, 0xbf737871, v32
	v_sub_f32_e32 v29, v29, v35
	v_sub_f32_e32 v31, v31, v33
	s_waitcnt vmcnt(6)
	v_add_f32_e32 v33, v24, v22
	v_fmac_f32_e32 v41, 0x3e9e377a, v40
	v_fmac_f32_e32 v0, 0x3e9e377a, v40
	;; [unrolled: 1-line block ×3, first 2 shown]
	v_add_f32_e32 v30, v39, v30
	v_fmamk_f32 v39, v28, 0xbf737871, v1
	v_fmac_f32_e32 v46, 0xbf167918, v28
	v_add_f32_e32 v29, v31, v29
	v_add_f32_e32 v31, v20, v2
	v_fma_f32 v33, -0.5, v33, v2
	s_waitcnt vmcnt(5)
	v_sub_f32_e32 v34, v21, v27
	v_fmac_f32_e32 v1, 0x3f737871, v28
	v_add_f32_e32 v40, v26, v20
	v_fmac_f32_e32 v38, 0x3e9e377a, v30
	v_fmac_f32_e32 v39, 0x3f167918, v32
	;; [unrolled: 1-line block ×3, first 2 shown]
	v_add_f32_e32 v28, v22, v31
	v_fmamk_f32 v30, v34, 0xbf737871, v33
	v_sub_f32_e32 v31, v23, v25
	v_fmac_f32_e32 v1, 0xbf167918, v32
	v_fmac_f32_e32 v2, -0.5, v40
	v_fmac_f32_e32 v33, 0x3f737871, v34
	v_add_f32_e32 v40, v21, v3
	v_fmac_f32_e32 v39, 0x3e9e377a, v29
	v_sub_f32_e32 v35, v20, v22
	v_sub_f32_e32 v37, v26, v24
	v_add_f32_e32 v28, v24, v28
	v_fmac_f32_e32 v30, 0xbf167918, v31
	v_fmac_f32_e32 v1, 0x3e9e377a, v29
	v_fmamk_f32 v29, v31, 0x3f737871, v2
	v_fmac_f32_e32 v33, 0x3f167918, v31
	v_add_f32_e32 v43, v25, v23
	v_fmac_f32_e32 v2, 0xbf737871, v31
	v_add_f32_e32 v31, v23, v40
	v_add_f32_e32 v32, v37, v35
	;; [unrolled: 1-line block ×3, first 2 shown]
	v_sub_f32_e32 v35, v22, v20
	v_sub_f32_e32 v37, v24, v26
	v_fma_f32 v48, -0.5, v43, v3
	v_sub_f32_e32 v20, v20, v26
	v_add_f32_e32 v26, v25, v31
	v_add_f32_e32 v31, v27, v21
	v_fmac_f32_e32 v30, 0x3e9e377a, v32
	v_fmac_f32_e32 v33, 0x3e9e377a, v32
	v_fmamk_f32 v49, v20, 0x3f737871, v48
	v_sub_f32_e32 v22, v22, v24
	v_sub_f32_e32 v24, v21, v23
	;; [unrolled: 1-line block ×3, first 2 shown]
	v_fmac_f32_e32 v3, -0.5, v31
	v_fmac_f32_e32 v48, 0xbf737871, v20
	v_sub_f32_e32 v21, v23, v21
	v_sub_f32_e32 v23, v25, v27
	s_waitcnt vmcnt(1)
	v_add_f32_e32 v25, v5, v16
	v_fmac_f32_e32 v29, 0xbf167918, v34
	v_add_f32_e32 v35, v37, v35
	v_fmac_f32_e32 v2, 0x3f167918, v34
	v_fmac_f32_e32 v49, 0x3f167918, v22
	v_add_f32_e32 v24, v32, v24
	v_fmamk_f32 v50, v22, 0xbf737871, v3
	v_fmac_f32_e32 v48, 0xbf167918, v22
	v_add_f32_e32 v21, v23, v21
	v_fmac_f32_e32 v3, 0x3f737871, v22
	v_add_f32_e32 v22, v14, v12
	v_fma_f32 v23, -0.5, v25, v12
	s_waitcnt vmcnt(0)
	v_sub_f32_e32 v25, v15, v19
	v_add_f32_e32 v31, v18, v14
	v_fmac_f32_e32 v29, 0x3e9e377a, v35
	v_fmac_f32_e32 v2, 0x3e9e377a, v35
	v_add_f32_e32 v35, v27, v26
	v_fmac_f32_e32 v49, 0x3e9e377a, v24
	v_fmac_f32_e32 v50, 0x3f167918, v20
	;; [unrolled: 1-line block ×4, first 2 shown]
	v_add_f32_e32 v20, v16, v22
	v_fmamk_f32 v22, v25, 0xbf737871, v23
	v_sub_f32_e32 v24, v17, v6
	v_sub_f32_e32 v26, v14, v16
	;; [unrolled: 1-line block ×3, first 2 shown]
	v_fmac_f32_e32 v23, 0x3f737871, v25
	v_fmac_f32_e32 v12, -0.5, v31
	v_fmac_f32_e32 v50, 0x3e9e377a, v21
	v_fmac_f32_e32 v22, 0xbf167918, v24
	v_add_f32_e32 v26, v27, v26
	v_fmac_f32_e32 v23, 0x3f167918, v24
	v_fmac_f32_e32 v3, 0x3e9e377a, v21
	v_fmamk_f32 v21, v24, 0x3f737871, v12
	v_fmac_f32_e32 v12, 0xbf737871, v24
	v_fmac_f32_e32 v22, 0x3e9e377a, v26
	;; [unrolled: 1-line block ×3, first 2 shown]
	v_add_f32_e32 v26, v15, v13
	v_add_f32_e32 v27, v6, v17
	v_fmac_f32_e32 v21, 0xbf167918, v25
	v_fmac_f32_e32 v12, 0x3f167918, v25
	v_add_f32_e32 v25, v19, v15
	v_add_f32_e32 v20, v5, v20
	v_sub_f32_e32 v31, v16, v14
	v_sub_f32_e32 v32, v5, v18
	v_add_f32_e32 v24, v17, v26
	v_fma_f32 v27, -0.5, v27, v13
	v_sub_f32_e32 v5, v16, v5
	v_fmac_f32_e32 v13, -0.5, v25
	v_add_f32_e32 v20, v18, v20
	v_sub_f32_e32 v14, v14, v18
	v_add_f32_e32 v18, v32, v31
	v_add_f32_e32 v24, v6, v24
	v_fmamk_f32 v52, v5, 0xbf737871, v13
	v_fmac_f32_e32 v13, 0x3f737871, v5
	v_fmamk_f32 v51, v14, 0x3f737871, v27
	v_fmac_f32_e32 v21, 0x3e9e377a, v18
	v_fmac_f32_e32 v12, 0x3e9e377a, v18
	v_add_f32_e32 v16, v19, v24
	v_sub_f32_e32 v18, v15, v17
	v_sub_f32_e32 v24, v19, v6
	v_fmac_f32_e32 v27, 0xbf737871, v14
	v_sub_f32_e32 v15, v17, v15
	v_sub_f32_e32 v6, v6, v19
	v_fmac_f32_e32 v52, 0x3f167918, v14
	v_fmac_f32_e32 v13, 0xbf167918, v14
	v_mad_u32_u24 v14, v36, 20, 0
	s_load_dwordx2 s[2:3], s[2:3], 0x0
	v_fmac_f32_e32 v51, 0x3f167918, v5
	v_fmac_f32_e32 v27, 0xbf167918, v5
	v_add_f32_e32 v5, v6, v15
	v_add_nc_u32_e32 v15, 0x12fc, v14
	ds_write2_b32 v14, v7, v42 offset1:1
	ds_write2_b32 v14, v41, v0 offset0:2 offset1:3
	ds_write_b32 v14, v4 offset:16
	v_add_nc_u32_e32 v0, 0x1304, v14
	v_mov_b32_e32 v53, 0xcccd
	v_add_nc_u32_e32 v37, 0x2d9, v36
	ds_write2_b32 v15, v28, v30 offset1:1
	ds_write2_b32 v0, v29, v2 offset1:1
	ds_write_b32 v14, v33 offset:4876
	v_lshlrev_b32_e32 v4, 4, v36
	v_mul_u32_u24_sdwa v2, v37, v53 dst_sel:DWORD dst_unused:UNUSED_PAD src0_sel:WORD_0 src1_sel:DWORD
	v_add_f32_e32 v17, v24, v18
	v_mov_b32_e32 v18, 4
	v_add_nc_u32_e32 v19, 0x2600, v14
	v_sub_nc_u32_e32 v30, v14, v4
	v_lshrrev_b32_e32 v55, 18, v2
	v_fmac_f32_e32 v51, 0x3e9e377a, v17
	v_fmac_f32_e32 v27, 0x3e9e377a, v17
	v_add_nc_u32_e32 v17, 0x25f8, v14
	v_add_nc_u32_e32 v29, 0x16c0, v30
	v_mul_lo_u16 v2, v55, 5
	v_add_nc_u32_e32 v28, 0x780, v30
	v_add_nc_u32_e32 v32, 0xf00, v30
	;; [unrolled: 1-line block ×4, first 2 shown]
	v_sub_nc_u16 v56, v37, v2
	v_add_nc_u32_e32 v34, 0x1e40, v30
	v_fmac_f32_e32 v52, 0x3e9e377a, v5
	v_fmac_f32_e32 v13, 0x3e9e377a, v5
	ds_write2_b32 v17, v20, v22 offset1:1
	ds_write2_b32 v19, v21, v12 offset1:1
	ds_write_b32 v14, v23 offset:9736
	s_waitcnt lgkmcnt(0)
	s_barrier
	buffer_gl0_inv
	ds_read2_b32 v[6:7], v30 offset1:243
	ds_read2_b32 v[4:5], v32 offset0:12 offset1:255
	ds_read2_b32 v[23:24], v33 offset0:6 offset1:249
	;; [unrolled: 1-line block ×6, first 2 shown]
	ds_read_b32 v54, v30 offset:13608
	s_waitcnt lgkmcnt(0)
	s_barrier
	buffer_gl0_inv
	ds_write2_b32 v14, v47, v38 offset1:1
	ds_write2_b32 v14, v39, v1 offset0:2 offset1:3
	ds_write_b32 v14, v46 offset:16
	ds_write2_b32 v15, v35, v49 offset1:1
	ds_write2_b32 v0, v50, v3 offset1:1
	ds_write_b32 v14, v48 offset:4876
	ds_write2_b32 v17, v16, v51 offset1:1
	ds_write2_b32 v19, v52, v13 offset1:1
	v_lshlrev_b32_sdwa v0, v18, v56 dst_sel:DWORD dst_unused:UNUSED_PAD src0_sel:DWORD src1_sel:WORD_0
	ds_write_b32 v14, v27 offset:9736
	s_waitcnt lgkmcnt(0)
	s_barrier
	buffer_gl0_inv
	global_load_dwordx4 v[0:3], v0, s[12:13]
	v_add_nc_u32_e32 v38, 0x1e6, v36
	v_add_nc_u32_e32 v35, 0xf3, v36
	v_cmp_gt_u32_e64 s0, 0x87, v36
	v_mul_u32_u24_sdwa v12, v38, v53 dst_sel:DWORD dst_unused:UNUSED_PAD src0_sel:WORD_0 src1_sel:DWORD
	v_mul_u32_u24_sdwa v16, v35, v53 dst_sel:DWORD dst_unused:UNUSED_PAD src0_sel:WORD_0 src1_sel:DWORD
	v_lshrrev_b32_e32 v17, 18, v12
	v_lshrrev_b32_e32 v50, 18, v16
	v_mul_lo_u16 v12, v17, 5
	v_mul_lo_u16 v16, v50, 5
	v_sub_nc_u16 v27, v38, v12
	v_sub_nc_u16 v51, v35, v16
	v_and_b32_e32 v16, 0xff, v36
	v_lshlrev_b32_sdwa v12, v18, v27 dst_sel:DWORD dst_unused:UNUSED_PAD src0_sel:DWORD src1_sel:WORD_0
	v_lshlrev_b32_sdwa v19, v18, v51 dst_sel:DWORD dst_unused:UNUSED_PAD src0_sel:DWORD src1_sel:WORD_0
	v_mul_lo_u16 v39, 0xcd, v16
	global_load_dwordx4 v[12:15], v12, s[12:13]
	ds_read2_b32 v[46:47], v31 offset0:4 offset1:247
	ds_read2_b32 v[48:49], v34 offset0:8 offset1:251
	global_load_dwordx4 v[19:22], v19, s[12:13]
	v_lshrrev_b16 v52, 10, v39
	v_mul_lo_u16 v39, v52, 5
	v_sub_nc_u16 v57, v36, v39
	v_lshlrev_b32_sdwa v39, v18, v57 dst_sel:DWORD dst_unused:UNUSED_PAD src0_sel:DWORD src1_sel:BYTE_0
	s_waitcnt vmcnt(2) lgkmcnt(1)
	v_mul_f32_e32 v58, v47, v3
	s_waitcnt lgkmcnt(0)
	v_mul_f32_e32 v59, v48, v1
	v_mul_f32_e32 v1, v44, v1
	v_mul_f32_e32 v3, v43, v3
	v_fmac_f32_e32 v58, v43, v2
	v_fmac_f32_e32 v59, v44, v0
	v_fma_f32 v48, v48, v0, -v1
	v_fma_f32 v47, v47, v2, -v3
	global_load_dwordx4 v[0:3], v39, s[12:13]
	ds_read2_b32 v[43:44], v29 offset0:2 offset1:245
	v_add_nc_u32_e32 v39, 0x3cc, v36
	s_waitcnt vmcnt(2)
	v_mul_f32_e32 v60, v46, v15
	v_mul_f32_e32 v15, v42, v15
	v_fmac_f32_e32 v60, v42, v14
	s_waitcnt lgkmcnt(0)
	v_mul_f32_e32 v42, v44, v13
	v_mul_f32_e32 v13, v26, v13
	v_fma_f32 v46, v46, v14, -v15
	ds_read2_b32 v[14:15], v32 offset0:12 offset1:255
	v_fmac_f32_e32 v42, v26, v12
	v_fma_f32 v26, v44, v12, -v13
	ds_read2_b32 v[12:13], v33 offset0:6 offset1:249
	s_waitcnt vmcnt(1)
	v_mul_f32_e32 v44, v43, v20
	v_mul_f32_e32 v20, v25, v20
	v_fmac_f32_e32 v44, v25, v19
	v_mul_u32_u24_sdwa v25, v39, v53 dst_sel:DWORD dst_unused:UNUSED_PAD src0_sel:WORD_0 src1_sel:DWORD
	v_fma_f32 v43, v43, v19, -v20
	v_mul_f32_e32 v19, v24, v22
	v_mov_b32_e32 v20, 60
	v_lshrrev_b32_e32 v25, 18, v25
	s_waitcnt lgkmcnt(0)
	v_mul_f32_e32 v53, v13, v22
	v_fma_f32 v13, v13, v21, -v19
	v_mul_lo_u16 v19, v25, 5
	v_mul_u32_u24_sdwa v22, v52, v20 dst_sel:DWORD dst_unused:UNUSED_PAD src0_sel:WORD_0 src1_sel:DWORD
	v_mul_u32_u24_e32 v25, 60, v25
	v_fmac_f32_e32 v53, v24, v21
	ds_read2_b32 v[20:21], v30 offset1:243
	v_sub_nc_u16 v61, v39, v19
	v_lshlrev_b32_sdwa v19, v18, v61 dst_sel:DWORD dst_unused:UNUSED_PAD src0_sel:DWORD src1_sel:WORD_0
	s_waitcnt vmcnt(0)
	v_mul_f32_e32 v24, v12, v3
	v_mul_f32_e32 v3, v23, v3
	;; [unrolled: 1-line block ×4, first 2 shown]
	v_fmac_f32_e32 v24, v23, v2
	v_fma_f32 v12, v12, v2, -v3
	v_fmac_f32_e32 v62, v5, v0
	v_fma_f32 v5, v15, v0, -v1
	global_load_dwordx4 v[0:3], v19, s[12:13]
	ds_read_b32 v15, v30 offset:13608
	v_mov_b32_e32 v19, 2
	v_mul_u32_u24_e32 v23, 60, v50
	v_add_f32_e32 v50, v44, v53
	s_waitcnt vmcnt(0)
	v_mul_f32_e32 v63, v49, v1
	v_mul_f32_e32 v1, v45, v1
	v_fmac_f32_e32 v63, v45, v0
	v_lshlrev_b32_sdwa v45, v19, v57 dst_sel:DWORD dst_unused:UNUSED_PAD src0_sel:DWORD src1_sel:BYTE_0
	v_fma_f32 v0, v49, v0, -v1
	v_lshlrev_b32_sdwa v1, v19, v51 dst_sel:DWORD dst_unused:UNUSED_PAD src0_sel:DWORD src1_sel:WORD_0
	s_waitcnt lgkmcnt(0)
	v_mul_f32_e32 v49, v15, v3
	v_mul_f32_e32 v3, v54, v3
	v_add3_u32 v45, 0, v22, v45
	v_add_f32_e32 v51, v7, v44
	v_add3_u32 v52, 0, v23, v1
	ds_read2_b32 v[22:23], v28 offset0:6 offset1:249
	v_fmac_f32_e32 v49, v54, v2
	v_fma_f32 v1, v15, v2, -v3
	v_add_f32_e32 v2, v6, v62
	v_add_f32_e32 v3, v62, v24
	v_sub_f32_e32 v54, v62, v24
	v_sub_f32_e32 v44, v44, v53
	v_add_f32_e32 v51, v51, v53
	v_add_f32_e32 v2, v2, v24
	v_sub_f32_e32 v24, v43, v13
	v_add_f32_e32 v53, v21, v43
	v_add_f32_e32 v43, v43, v13
	v_fmac_f32_e32 v7, -0.5, v50
	v_add_f32_e32 v50, v20, v5
	v_sub_f32_e32 v15, v5, v12
	v_add_f32_e32 v5, v5, v12
	v_fmac_f32_e32 v21, -0.5, v43
	v_add_f32_e32 v53, v53, v13
	v_add_f32_e32 v57, v50, v12
	;; [unrolled: 1-line block ×3, first 2 shown]
	s_waitcnt lgkmcnt(0)
	v_add_f32_e32 v43, v22, v26
	v_sub_f32_e32 v50, v26, v46
	v_add_f32_e32 v26, v26, v46
	v_add_f32_e32 v13, v42, v60
	v_sub_f32_e32 v42, v42, v60
	v_add_f32_e32 v43, v43, v46
	v_add_f32_e32 v46, v41, v59
	;; [unrolled: 1-line block ×4, first 2 shown]
	v_sub_f32_e32 v59, v59, v58
	v_sub_f32_e32 v62, v63, v49
	v_add_f32_e32 v46, v46, v58
	v_add_f32_e32 v58, v23, v48
	v_fmac_f32_e32 v41, -0.5, v60
	v_add_f32_e32 v60, v48, v47
	v_sub_f32_e32 v48, v48, v47
	v_fma_f32 v20, -0.5, v5, v20
	v_add_f32_e32 v47, v58, v47
	v_add_f32_e32 v58, v4, v63
	v_fmac_f32_e32 v23, -0.5, v60
	v_add_f32_e32 v60, v63, v49
	s_barrier
	v_add_f32_e32 v49, v58, v49
	v_add_f32_e32 v58, v14, v0
	v_fmac_f32_e32 v4, -0.5, v60
	v_add_f32_e32 v60, v0, v1
	v_sub_f32_e32 v0, v0, v1
	buffer_gl0_inv
	v_add_f32_e32 v58, v58, v1
	v_fma_f32 v1, -0.5, v3, v6
	v_fmamk_f32 v6, v24, 0xbf5db3d7, v7
	v_fma_f32 v3, -0.5, v13, v40
	v_fma_f32 v22, -0.5, v26, v22
	v_fmac_f32_e32 v14, -0.5, v60
	v_fmamk_f32 v5, v15, 0xbf5db3d7, v1
	v_fmac_f32_e32 v1, 0x3f5db3d7, v15
	v_fmamk_f32 v15, v54, 0x3f5db3d7, v20
	v_fmac_f32_e32 v20, 0xbf5db3d7, v54
	ds_write2_b32 v45, v2, v5 offset1:5
	ds_write_b32 v45, v1 offset:40
	ds_write2_b32 v52, v51, v6 offset1:5
	v_mul_u32_u24_e32 v5, 60, v17
	v_lshlrev_b32_sdwa v6, v19, v27 dst_sel:DWORD dst_unused:UNUSED_PAD src0_sel:DWORD src1_sel:WORD_0
	v_mul_u32_u24_e32 v17, 60, v55
	v_lshlrev_b32_sdwa v27, v19, v56 dst_sel:DWORD dst_unused:UNUSED_PAD src0_sel:DWORD src1_sel:WORD_0
	v_mov_b32_e32 v54, 0x8889
	v_lshlrev_b32_sdwa v40, v19, v61 dst_sel:DWORD dst_unused:UNUSED_PAD src0_sel:DWORD src1_sel:WORD_0
	v_fmac_f32_e32 v7, 0x3f5db3d7, v24
	v_fmamk_f32 v13, v50, 0xbf5db3d7, v3
	v_add3_u32 v17, 0, v17, v27
	v_mul_u32_u24_sdwa v27, v39, v54 dst_sel:DWORD dst_unused:UNUSED_PAD src0_sel:WORD_0 src1_sel:DWORD
	v_fmamk_f32 v26, v42, 0x3f5db3d7, v22
	v_fmac_f32_e32 v22, 0xbf5db3d7, v42
	v_add3_u32 v42, 0, v5, v6
	v_fmac_f32_e32 v3, 0x3f5db3d7, v50
	v_fmamk_f32 v1, v48, 0xbf5db3d7, v41
	v_fmac_f32_e32 v41, 0x3f5db3d7, v48
	v_fmamk_f32 v2, v0, 0xbf5db3d7, v4
	v_fmac_f32_e32 v4, 0x3f5db3d7, v0
	v_add3_u32 v25, 0, v25, v40
	v_lshrrev_b32_e32 v56, 19, v27
	v_fmamk_f32 v27, v62, 0x3f5db3d7, v14
	v_fmac_f32_e32 v14, 0xbf5db3d7, v62
	v_fmamk_f32 v24, v44, 0x3f5db3d7, v21
	ds_write_b32 v52, v7 offset:40
	ds_write2_b32 v42, v12, v13 offset1:5
	ds_write_b32 v42, v3 offset:40
	ds_write2_b32 v17, v46, v1 offset1:5
	ds_write_b32 v17, v41 offset:40
	ds_write2_b32 v25, v49, v2 offset1:5
	ds_write_b32 v25, v4 offset:40
	s_waitcnt lgkmcnt(0)
	s_barrier
	buffer_gl0_inv
	ds_read2_b32 v[2:3], v30 offset1:243
	ds_read2_b32 v[0:1], v32 offset0:12 offset1:255
	ds_read2_b32 v[6:7], v33 offset0:6 offset1:249
	;; [unrolled: 1-line block ×6, first 2 shown]
	ds_read_b32 v55, v30 offset:13608
	s_waitcnt lgkmcnt(0)
	s_barrier
	buffer_gl0_inv
	ds_write2_b32 v45, v57, v15 offset1:5
	v_fmamk_f32 v15, v59, 0x3f5db3d7, v23
	v_fmac_f32_e32 v21, 0xbf5db3d7, v44
	v_fmac_f32_e32 v23, 0xbf5db3d7, v59
	v_mul_lo_u16 v40, v56, 15
	ds_write_b32 v45, v20 offset:40
	ds_write2_b32 v52, v53, v24 offset1:5
	ds_write_b32 v52, v21 offset:40
	ds_write2_b32 v42, v43, v26 offset1:5
	;; [unrolled: 2-line block ×4, first 2 shown]
	ds_write_b32 v25, v14 offset:40
	v_mul_u32_u24_sdwa v14, v37, v54 dst_sel:DWORD dst_unused:UNUSED_PAD src0_sel:WORD_0 src1_sel:DWORD
	v_sub_nc_u16 v52, v39, v40
	s_waitcnt lgkmcnt(0)
	s_barrier
	buffer_gl0_inv
	v_lshrrev_b32_e32 v17, 19, v14
	v_lshlrev_b32_sdwa v15, v18, v52 dst_sel:DWORD dst_unused:UNUSED_PAD src0_sel:DWORD src1_sel:WORD_0
	v_mul_lo_u16 v14, v17, 15
	global_load_dwordx4 v[20:23], v15, s[12:13] offset:80
	v_mul_u32_u24_e32 v17, 0xb4, v17
	v_sub_nc_u16 v53, v37, v14
	v_lshlrev_b32_sdwa v14, v18, v53 dst_sel:DWORD dst_unused:UNUSED_PAD src0_sel:DWORD src1_sel:WORD_0
	global_load_dwordx4 v[24:27], v14, s[12:13] offset:80
	v_mul_u32_u24_sdwa v15, v38, v54 dst_sel:DWORD dst_unused:UNUSED_PAD src0_sel:WORD_0 src1_sel:DWORD
	v_lshrrev_b32_e32 v57, 19, v15
	v_mul_lo_u16 v15, v57, 15
	v_sub_nc_u16 v58, v38, v15
	v_mul_lo_u16 v15, 0x89, v16
	v_mul_lo_u16 v16, 0x6d, v16
	v_lshlrev_b32_sdwa v14, v18, v58 dst_sel:DWORD dst_unused:UNUSED_PAD src0_sel:DWORD src1_sel:WORD_0
	v_lshrrev_b16 v59, 11, v15
	v_lshrrev_b16 v16, 8, v16
	global_load_dwordx4 v[40:43], v14, s[12:13] offset:80
	v_mul_lo_u16 v14, v59, 15
	v_sub_nc_u16 v60, v36, v14
	v_lshlrev_b32_sdwa v14, v18, v60 dst_sel:DWORD dst_unused:UNUSED_PAD src0_sel:DWORD src1_sel:BYTE_0
	global_load_dwordx4 v[44:47], v14, s[12:13] offset:80
	ds_read_b32 v61, v30 offset:13608
	ds_read2_b32 v[14:15], v34 offset0:8 offset1:251
	s_waitcnt vmcnt(3) lgkmcnt(1)
	v_mul_f32_e32 v62, v61, v23
	v_mul_f32_e32 v23, v55, v23
	v_fmac_f32_e32 v62, v55, v22
	s_waitcnt lgkmcnt(0)
	v_mul_f32_e32 v55, v15, v21
	v_mul_f32_e32 v21, v51, v21
	v_fma_f32 v61, v61, v22, -v23
	v_fmac_f32_e32 v55, v51, v20
	v_fma_f32 v51, v15, v20, -v21
	ds_read2_b32 v[20:21], v31 offset0:4 offset1:247
	s_waitcnt vmcnt(2)
	v_mul_f32_e32 v15, v50, v25
	v_mul_f32_e32 v63, v14, v25
	;; [unrolled: 1-line block ×3, first 2 shown]
	v_fma_f32 v64, v14, v24, -v15
	ds_read2_b32 v[14:15], v29 offset0:2 offset1:245
	v_fmac_f32_e32 v63, v50, v24
	ds_read2_b32 v[23:24], v33 offset0:6 offset1:249
	s_waitcnt lgkmcnt(2)
	v_mul_f32_e32 v50, v21, v27
	v_fmac_f32_e32 v50, v49, v26
	v_fma_f32 v49, v21, v26, -v22
	ds_read2_b32 v[25:26], v32 offset0:12 offset1:255
	s_waitcnt vmcnt(1)
	v_mul_f32_e32 v65, v20, v43
	v_mul_f32_e32 v21, v48, v43
	s_waitcnt lgkmcnt(2)
	v_mul_f32_e32 v43, v15, v41
	v_fmac_f32_e32 v65, v48, v42
	v_fma_f32 v42, v20, v42, -v21
	v_mul_f32_e32 v20, v13, v41
	v_mul_u32_u24_sdwa v21, v35, v54 dst_sel:DWORD dst_unused:UNUSED_PAD src0_sel:WORD_0 src1_sel:DWORD
	v_fmac_f32_e32 v43, v13, v40
	v_fma_f32 v13, v15, v40, -v20
	v_lshrrev_b32_e32 v27, 19, v21
	v_mov_b32_e32 v21, 0xb4
	s_waitcnt vmcnt(0) lgkmcnt(1)
	v_mul_f32_e32 v15, v23, v47
	v_mul_f32_e32 v20, v6, v47
	;; [unrolled: 1-line block ×3, first 2 shown]
	v_lshlrev_b32_sdwa v47, v19, v52 dst_sel:DWORD dst_unused:UNUSED_PAD src0_sel:DWORD src1_sel:WORD_0
	s_waitcnt lgkmcnt(0)
	v_mul_f32_e32 v40, v26, v45
	v_fmac_f32_e32 v15, v6, v46
	v_fma_f32 v6, v23, v46, -v20
	v_mul_lo_u16 v20, v27, 15
	v_mul_u32_u24_e32 v27, 0xb4, v27
	v_fmac_f32_e32 v40, v1, v44
	v_fma_f32 v1, v26, v44, -v22
	v_lshlrev_b32_sdwa v45, v19, v58 dst_sel:DWORD dst_unused:UNUSED_PAD src0_sel:DWORD src1_sel:WORD_0
	v_sub_nc_u16 v26, v35, v20
	v_mul_u32_u24_sdwa v20, v59, v21 dst_sel:DWORD dst_unused:UNUSED_PAD src0_sel:WORD_0 src1_sel:DWORD
	v_lshlrev_b32_sdwa v21, v19, v60 dst_sel:DWORD dst_unused:UNUSED_PAD src0_sel:DWORD src1_sel:BYTE_0
	v_lshlrev_b32_sdwa v46, v19, v53 dst_sel:DWORD dst_unused:UNUSED_PAD src0_sel:DWORD src1_sel:WORD_0
	v_mov_b32_e32 v59, 0x2d83
	v_lshlrev_b32_sdwa v22, v18, v26 dst_sel:DWORD dst_unused:UNUSED_PAD src0_sel:DWORD src1_sel:WORD_0
	v_lshlrev_b32_sdwa v26, v19, v26 dst_sel:DWORD dst_unused:UNUSED_PAD src0_sel:DWORD src1_sel:WORD_0
	v_add3_u32 v41, 0, v20, v21
	v_add3_u32 v17, 0, v17, v46
	v_add_f32_e32 v48, v4, v43
	global_load_dwordx4 v[20:23], v22, s[12:13] offset:80
	v_add3_u32 v54, 0, v27, v26
	v_mul_u32_u24_e32 v26, 0xb4, v57
	v_mul_u32_u24_e32 v27, 0xb4, v56
	v_add_f32_e32 v56, v55, v62
	v_add_f32_e32 v48, v48, v65
	v_add3_u32 v52, 0, v26, v45
	v_add3_u32 v53, 0, v27, v47
	ds_read2_b32 v[26:27], v28 offset0:6 offset1:249
	v_mul_u32_u24_sdwa v45, v38, v59 dst_sel:DWORD dst_unused:UNUSED_PAD src0_sel:WORD_0 src1_sel:DWORD
	s_waitcnt vmcnt(0)
	v_mul_f32_e32 v44, v14, v21
	v_fmac_f32_e32 v44, v12, v20
	v_mul_f32_e32 v12, v12, v21
	v_add_f32_e32 v47, v3, v44
	v_fma_f32 v12, v14, v20, -v12
	ds_read2_b32 v[20:21], v30 offset1:243
	v_mul_f32_e32 v14, v24, v23
	v_mul_f32_e32 v23, v7, v23
	s_waitcnt lgkmcnt(0)
	s_barrier
	buffer_gl0_inv
	v_fmac_f32_e32 v14, v7, v22
	v_fma_f32 v7, v24, v22, -v23
	v_sub_f32_e32 v24, v1, v6
	v_add_f32_e32 v22, v2, v40
	v_add_f32_e32 v23, v40, v15
	;; [unrolled: 1-line block ×3, first 2 shown]
	v_sub_f32_e32 v44, v44, v14
	v_add_f32_e32 v47, v47, v14
	v_add_f32_e32 v14, v63, v50
	v_sub_f32_e32 v40, v40, v15
	v_fmac_f32_e32 v3, -0.5, v46
	v_add_f32_e32 v15, v22, v15
	v_add_f32_e32 v22, v43, v65
	v_sub_f32_e32 v43, v43, v65
	v_add_f32_e32 v46, v20, v1
	v_add_f32_e32 v1, v1, v6
	v_fma_f32 v2, -0.5, v23, v2
	v_fma_f32 v4, -0.5, v22, v4
	v_add_f32_e32 v57, v46, v6
	v_add_f32_e32 v6, v5, v63
	v_fmac_f32_e32 v5, -0.5, v14
	v_add_f32_e32 v14, v0, v55
	v_fmac_f32_e32 v0, -0.5, v56
	v_sub_f32_e32 v46, v12, v7
	v_sub_f32_e32 v56, v63, v50
	v_add_f32_e32 v6, v6, v50
	v_add_f32_e32 v50, v12, v7
	;; [unrolled: 1-line block ×5, first 2 shown]
	v_sub_f32_e32 v55, v55, v62
	v_fmac_f32_e32 v21, -0.5, v50
	v_add_f32_e32 v60, v12, v7
	v_add_f32_e32 v7, v27, v64
	v_sub_f32_e32 v50, v13, v42
	v_add_f32_e32 v12, v13, v42
	v_lshrrev_b32_e32 v13, 19, v45
	v_add_f32_e32 v42, v14, v42
	v_add_f32_e32 v63, v7, v49
	;; [unrolled: 1-line block ×4, first 2 shown]
	v_sub_f32_e32 v62, v64, v49
	v_sub_f32_e32 v45, v51, v61
	v_add_f32_e32 v49, v51, v61
	v_add_f32_e32 v51, v7, v61
	v_mul_lo_u16 v7, v13, 45
	v_fmac_f32_e32 v27, -0.5, v14
	v_fma_f32 v20, -0.5, v1, v20
	v_fma_f32 v22, -0.5, v12, v26
	v_fmac_f32_e32 v25, -0.5, v49
	v_sub_nc_u16 v14, v38, v7
	v_fmamk_f32 v1, v24, 0xbf5db3d7, v2
	v_fmamk_f32 v12, v50, 0xbf5db3d7, v4
	v_fmac_f32_e32 v4, 0x3f5db3d7, v50
	v_fmamk_f32 v26, v40, 0x3f5db3d7, v20
	v_fmamk_f32 v50, v43, 0x3f5db3d7, v22
	v_fmac_f32_e32 v22, 0xbf5db3d7, v43
	v_fmamk_f32 v43, v56, 0x3f5db3d7, v27
	v_fmac_f32_e32 v27, 0xbf5db3d7, v56
	;; [unrolled: 2-line block ×3, first 2 shown]
	v_lshlrev_b32_sdwa v55, v18, v14 dst_sel:DWORD dst_unused:UNUSED_PAD src0_sel:DWORD src1_sel:WORD_0
	v_fmac_f32_e32 v2, 0x3f5db3d7, v24
	v_fmac_f32_e32 v20, 0xbf5db3d7, v40
	v_fmamk_f32 v7, v46, 0xbf5db3d7, v3
	v_fmamk_f32 v40, v44, 0x3f5db3d7, v21
	v_fmac_f32_e32 v3, 0x3f5db3d7, v46
	v_fmac_f32_e32 v21, 0xbf5db3d7, v44
	v_fmamk_f32 v23, v62, 0xbf5db3d7, v5
	v_fmac_f32_e32 v5, 0x3f5db3d7, v62
	v_fmamk_f32 v24, v45, 0xbf5db3d7, v0
	v_fmac_f32_e32 v0, 0x3f5db3d7, v45
	ds_write2_b32 v41, v15, v1 offset1:15
	ds_write_b32 v41, v2 offset:120
	ds_write2_b32 v54, v47, v7 offset1:15
	ds_write_b32 v54, v3 offset:120
	;; [unrolled: 2-line block ×5, first 2 shown]
	s_waitcnt lgkmcnt(0)
	s_barrier
	buffer_gl0_inv
	ds_read2_b32 v[2:3], v30 offset1:243
	ds_read2_b32 v[0:1], v32 offset0:12 offset1:255
	ds_read2_b32 v[44:45], v33 offset0:6 offset1:249
	;; [unrolled: 1-line block ×3, first 2 shown]
	ds_read_b32 v12, v30 offset:13608
	ds_read2_b32 v[4:5], v28 offset0:6 offset1:249
	ds_read2_b32 v[48:49], v31 offset0:4 offset1:247
	;; [unrolled: 1-line block ×3, first 2 shown]
	s_waitcnt lgkmcnt(0)
	s_barrier
	buffer_gl0_inv
	ds_write2_b32 v41, v57, v26 offset1:15
	ds_write_b32 v41, v20 offset:120
	ds_write2_b32 v54, v60, v40 offset1:15
	ds_write_b32 v54, v21 offset:120
	;; [unrolled: 2-line block ×5, first 2 shown]
	s_waitcnt lgkmcnt(0)
	s_barrier
	buffer_gl0_inv
	global_load_dwordx4 v[20:23], v55, s[12:13] offset:320
	v_mul_u32_u24_sdwa v15, v37, v59 dst_sel:DWORD dst_unused:UNUSED_PAD src0_sel:WORD_0 src1_sel:DWORD
	v_mul_u32_u24_sdwa v40, v35, v59 dst_sel:DWORD dst_unused:UNUSED_PAD src0_sel:WORD_0 src1_sel:DWORD
	ds_read2_b32 v[50:51], v29 offset0:2 offset1:245
	ds_read2_b32 v[52:53], v31 offset0:4 offset1:247
	v_mul_u32_u24_e32 v13, 0x21c, v13
	v_lshrrev_b32_e32 v15, 19, v15
	v_lshrrev_b32_e32 v54, 19, v40
	v_sub_nc_u16 v40, v36, v16
	v_lshlrev_b32_sdwa v14, v19, v14 dst_sel:DWORD dst_unused:UNUSED_PAD src0_sel:DWORD src1_sel:WORD_0
	v_mul_lo_u16 v17, v15, 45
	v_mul_lo_u16 v41, v54, 45
	v_lshrrev_b16 v40, 1, v40
	v_mul_u32_u24_e32 v15, 0x21c, v15
	v_add3_u32 v14, 0, v13, v14
	v_sub_nc_u16 v17, v37, v17
	v_sub_nc_u16 v55, v35, v41
	v_and_b32_e32 v40, 0x7f, v40
	v_mov_b32_e32 v13, 0x21c
	v_lshlrev_b32_sdwa v24, v18, v17 dst_sel:DWORD dst_unused:UNUSED_PAD src0_sel:DWORD src1_sel:WORD_0
	v_lshlrev_b32_sdwa v41, v18, v55 dst_sel:DWORD dst_unused:UNUSED_PAD src0_sel:DWORD src1_sel:WORD_0
	v_add_nc_u16 v16, v40, v16
	v_lshlrev_b32_sdwa v17, v19, v17 dst_sel:DWORD dst_unused:UNUSED_PAD src0_sel:DWORD src1_sel:WORD_0
	s_clause 0x1
	global_load_dwordx4 v[24:27], v24, s[12:13] offset:320
	global_load_dwordx4 v[40:43], v41, s[12:13] offset:320
	v_lshrrev_b16 v16, 5, v16
	v_add3_u32 v15, 0, v15, v17
	v_mul_lo_u16 v56, v16, 45
	v_mul_u32_u24_sdwa v13, v16, v13 dst_sel:DWORD dst_unused:UNUSED_PAD src0_sel:WORD_0 src1_sel:DWORD
	v_sub_nc_u16 v56, v36, v56
	v_lshlrev_b32_sdwa v60, v18, v56 dst_sel:DWORD dst_unused:UNUSED_PAD src0_sel:DWORD src1_sel:BYTE_0
	v_lshlrev_b32_sdwa v16, v19, v56 dst_sel:DWORD dst_unused:UNUSED_PAD src0_sel:DWORD src1_sel:BYTE_0
	s_waitcnt vmcnt(2) lgkmcnt(1)
	v_mul_f32_e32 v57, v51, v21
	v_mul_f32_e32 v21, v47, v21
	s_waitcnt lgkmcnt(0)
	v_mul_f32_e32 v58, v52, v23
	v_mul_f32_e32 v23, v48, v23
	v_fmac_f32_e32 v57, v47, v20
	v_fma_f32 v51, v51, v20, -v21
	v_fmac_f32_e32 v58, v48, v22
	v_fma_f32 v52, v52, v22, -v23
	global_load_dwordx4 v[20:23], v60, s[12:13] offset:320
	ds_read2_b32 v[47:48], v34 offset0:8 offset1:251
	s_waitcnt vmcnt(2)
	v_mul_f32_e32 v60, v53, v27
	v_mul_f32_e32 v27, v49, v27
	s_waitcnt vmcnt(1)
	v_mul_f32_e32 v61, v50, v41
	v_fmac_f32_e32 v60, v49, v26
	v_fma_f32 v49, v53, v26, -v27
	s_waitcnt lgkmcnt(0)
	v_mul_f32_e32 v53, v47, v25
	v_mul_f32_e32 v25, v6, v25
	v_fmac_f32_e32 v61, v46, v40
	ds_read2_b32 v[26:27], v32 offset0:12 offset1:255
	v_fmac_f32_e32 v53, v6, v24
	v_fma_f32 v47, v47, v24, -v25
	ds_read2_b32 v[24:25], v33 offset0:6 offset1:249
	v_mul_f32_e32 v6, v46, v41
	v_mul_u32_u24_sdwa v41, v39, v59 dst_sel:DWORD dst_unused:UNUSED_PAD src0_sel:WORD_0 src1_sel:DWORD
	v_add_f32_e32 v56, v3, v61
	v_fma_f32 v40, v50, v40, -v6
	v_mul_f32_e32 v6, v45, v43
	v_lshrrev_b32_e32 v41, 19, v41
	ds_read_b32 v50, v30 offset:13608
	s_waitcnt lgkmcnt(1)
	v_mul_f32_e32 v46, v25, v43
	v_fmac_f32_e32 v46, v45, v42
	v_fma_f32 v42, v25, v42, -v6
	v_mul_lo_u16 v6, v41, 45
	v_mul_u32_u24_e32 v41, 0x21c, v41
	v_sub_f32_e32 v59, v61, v46
	v_sub_nc_u16 v6, v39, v6
	v_lshlrev_b32_sdwa v25, v18, v6 dst_sel:DWORD dst_unused:UNUSED_PAD src0_sel:DWORD src1_sel:WORD_0
	v_lshlrev_b32_sdwa v6, v19, v6 dst_sel:DWORD dst_unused:UNUSED_PAD src0_sel:DWORD src1_sel:WORD_0
	v_add3_u32 v41, 0, v41, v6
	s_waitcnt vmcnt(0)
	v_mul_f32_e32 v43, v24, v23
	v_mul_f32_e32 v23, v44, v23
	;; [unrolled: 1-line block ×4, first 2 shown]
	v_fmac_f32_e32 v43, v44, v22
	v_fma_f32 v44, v24, v22, -v23
	global_load_dwordx4 v[22:25], v25, s[12:13] offset:320
	v_fmac_f32_e32 v45, v1, v20
	v_fma_f32 v1, v27, v20, -v21
	v_mov_b32_e32 v27, 0x795d
	v_mul_u32_u24_e32 v20, 0x21c, v54
	v_lshlrev_b32_sdwa v21, v19, v55 dst_sel:DWORD dst_unused:UNUSED_PAD src0_sel:DWORD src1_sel:WORD_0
	v_mul_u32_u24_sdwa v54, v38, v27 dst_sel:DWORD dst_unused:UNUSED_PAD src0_sel:WORD_0 src1_sel:DWORD
	v_add3_u32 v55, 0, v20, v21
	v_mul_u32_u24_sdwa v21, v37, v27 dst_sel:DWORD dst_unused:UNUSED_PAD src0_sel:WORD_0 src1_sel:DWORD
	v_lshrrev_b32_e32 v20, 22, v54
	v_add3_u32 v54, 0, v13, v16
	v_add_f32_e32 v13, v45, v43
	v_lshrrev_b32_e32 v21, 22, v21
	s_waitcnt vmcnt(0)
	v_mul_f32_e32 v17, v48, v23
	v_mul_f32_e32 v23, v7, v23
	s_waitcnt lgkmcnt(0)
	v_mul_f32_e32 v16, v50, v25
	v_fmac_f32_e32 v17, v7, v22
	ds_read2_b32 v[6:7], v30 offset1:243
	v_fma_f32 v22, v48, v22, -v23
	v_mul_f32_e32 v23, v12, v25
	v_fmac_f32_e32 v16, v12, v24
	v_add_f32_e32 v25, v2, v45
	v_fma_f32 v2, -0.5, v13, v2
	ds_read2_b32 v[12:13], v28 offset0:6 offset1:249
	v_fma_f32 v23, v50, v24, -v23
	v_add_f32_e32 v50, v61, v46
	v_sub_f32_e32 v48, v1, v44
	v_add_f32_e32 v24, v25, v43
	s_waitcnt lgkmcnt(0)
	s_barrier
	v_fmac_f32_e32 v3, -0.5, v50
	v_fmamk_f32 v25, v48, 0xbf5db3d7, v2
	buffer_gl0_inv
	v_sub_f32_e32 v43, v45, v43
	v_add_f32_e32 v45, v4, v57
	v_add_f32_e32 v46, v56, v46
	ds_write2_b32 v54, v24, v25 offset1:45
	v_add_f32_e32 v50, v6, v1
	v_add_f32_e32 v1, v1, v44
	v_sub_f32_e32 v24, v40, v42
	v_add_f32_e32 v56, v53, v60
	v_add_f32_e32 v25, v57, v58
	;; [unrolled: 1-line block ×4, first 2 shown]
	v_sub_f32_e32 v53, v53, v60
	v_sub_f32_e32 v57, v57, v58
	v_add_f32_e32 v45, v45, v58
	v_add_f32_e32 v58, v17, v16
	;; [unrolled: 1-line block ×5, first 2 shown]
	v_fmac_f32_e32 v5, -0.5, v56
	v_add_f32_e32 v56, v0, v17
	v_fmac_f32_e32 v0, -0.5, v58
	v_fmac_f32_e32 v7, -0.5, v60
	v_add_f32_e32 v60, v12, v51
	v_add_f32_e32 v40, v40, v42
	;; [unrolled: 1-line block ×3, first 2 shown]
	v_sub_f32_e32 v58, v51, v52
	v_sub_f32_e32 v17, v17, v16
	v_add_f32_e32 v16, v56, v16
	v_sub_f32_e32 v56, v47, v49
	v_add_f32_e32 v51, v51, v52
	v_add_f32_e32 v47, v47, v49
	;; [unrolled: 1-line block ×5, first 2 shown]
	v_mul_lo_u16 v49, 0x87, v20
	v_fmac_f32_e32 v13, -0.5, v47
	v_add_f32_e32 v47, v22, v23
	v_sub_f32_e32 v61, v22, v23
	v_add_f32_e32 v62, v52, v23
	v_sub_nc_u16 v23, v38, v49
	v_fma_f32 v6, -0.5, v1, v6
	v_mul_lo_u16 v22, 0x87, v21
	v_fma_f32 v4, -0.5, v25, v4
	v_fma_f32 v12, -0.5, v51, v12
	v_fmac_f32_e32 v26, -0.5, v47
	v_fmac_f32_e32 v2, 0x3f5db3d7, v48
	v_fmamk_f32 v1, v24, 0xbf5db3d7, v3
	v_fmamk_f32 v25, v56, 0xbf5db3d7, v5
	v_fmac_f32_e32 v5, 0x3f5db3d7, v56
	v_fmamk_f32 v48, v61, 0xbf5db3d7, v0
	v_fmac_f32_e32 v0, 0x3f5db3d7, v61
	v_fmamk_f32 v56, v43, 0x3f5db3d7, v6
	v_lshlrev_b32_sdwa v61, v18, v23 dst_sel:DWORD dst_unused:UNUSED_PAD src0_sel:DWORD src1_sel:WORD_0
	v_fmac_f32_e32 v3, 0x3f5db3d7, v24
	v_fmac_f32_e32 v6, 0xbf5db3d7, v43
	v_sub_nc_u16 v22, v37, v22
	v_fmamk_f32 v24, v58, 0xbf5db3d7, v4
	v_fmamk_f32 v43, v59, 0x3f5db3d7, v7
	v_fmac_f32_e32 v4, 0x3f5db3d7, v58
	v_fmac_f32_e32 v7, 0xbf5db3d7, v59
	v_fmamk_f32 v58, v57, 0x3f5db3d7, v12
	v_fmac_f32_e32 v12, 0xbf5db3d7, v57
	v_fmamk_f32 v57, v53, 0x3f5db3d7, v13
	;; [unrolled: 2-line block ×3, first 2 shown]
	v_fmac_f32_e32 v26, 0xbf5db3d7, v17
	ds_write_b32 v54, v2 offset:360
	ds_write2_b32 v55, v46, v1 offset1:45
	ds_write_b32 v55, v3 offset:360
	ds_write2_b32 v14, v45, v24 offset1:45
	;; [unrolled: 2-line block ×4, first 2 shown]
	ds_write_b32 v41, v0 offset:360
	s_waitcnt lgkmcnt(0)
	s_barrier
	buffer_gl0_inv
	ds_read2_b32 v[2:3], v30 offset1:243
	ds_read2_b32 v[0:1], v32 offset0:12 offset1:255
	ds_read2_b32 v[48:49], v33 offset0:6 offset1:249
	;; [unrolled: 1-line block ×3, first 2 shown]
	ds_read_b32 v64, v30 offset:13608
	ds_read2_b32 v[4:5], v28 offset0:6 offset1:249
	ds_read2_b32 v[16:17], v31 offset0:4 offset1:247
	ds_read2_b32 v[52:53], v34 offset0:8 offset1:251
	s_waitcnt lgkmcnt(0)
	s_barrier
	buffer_gl0_inv
	ds_write2_b32 v54, v44, v56 offset1:45
	ds_write_b32 v54, v6 offset:360
	ds_write2_b32 v55, v40, v43 offset1:45
	ds_write_b32 v55, v7 offset:360
	;; [unrolled: 2-line block ×5, first 2 shown]
	s_waitcnt lgkmcnt(0)
	s_barrier
	buffer_gl0_inv
	global_load_dwordx4 v[12:15], v61, s[12:13] offset:1040
	v_lshlrev_b32_sdwa v63, v18, v22 dst_sel:DWORD dst_unused:UNUSED_PAD src0_sel:DWORD src1_sel:WORD_0
	v_mul_u32_u24_sdwa v47, v39, v27 dst_sel:DWORD dst_unused:UNUSED_PAD src0_sel:WORD_0 src1_sel:DWORD
	v_mul_u32_u24_sdwa v27, v35, v27 dst_sel:DWORD dst_unused:UNUSED_PAD src0_sel:WORD_0 src1_sel:DWORD
	v_add_nc_u32_e32 v57, 0xffffff79, v36
	v_mul_u32_u24_e32 v20, 0x654, v20
	global_load_dwordx4 v[40:43], v63, s[12:13] offset:1040
	v_lshrrev_b32_e32 v24, 22, v47
	v_lshrrev_b32_e32 v58, 22, v27
	v_cndmask_b32_e64 v57, v57, v36, s0
	v_lshlrev_b32_sdwa v23, v19, v23 dst_sel:DWORD dst_unused:UNUSED_PAD src0_sel:DWORD src1_sel:WORD_0
	v_mul_u32_u24_e32 v21, 0x654, v21
	v_mul_lo_u16 v6, 0x87, v24
	v_mul_u32_u24_e32 v24, 0x654, v24
	v_lshlrev_b32_sdwa v22, v19, v22 dst_sel:DWORD dst_unused:UNUSED_PAD src0_sel:DWORD src1_sel:WORD_0
	v_add3_u32 v23, 0, v20, v23
	v_sub_nc_u16 v56, v39, v6
	v_add3_u32 v22, 0, v21, v22
	v_lshlrev_b32_sdwa v6, v18, v56 dst_sel:DWORD dst_unused:UNUSED_PAD src0_sel:DWORD src1_sel:WORD_0
	global_load_dwordx4 v[44:47], v6, s[12:13] offset:1040
	ds_read2_b32 v[6:7], v29 offset0:2 offset1:245
	ds_read2_b32 v[25:26], v31 offset0:4 offset1:247
	;; [unrolled: 1-line block ×3, first 2 shown]
	s_waitcnt vmcnt(2) lgkmcnt(2)
	v_mul_f32_e32 v59, v7, v13
	v_mul_f32_e32 v13, v51, v13
	s_waitcnt lgkmcnt(1)
	v_mul_f32_e32 v60, v25, v15
	v_mul_f32_e32 v15, v16, v15
	v_fmac_f32_e32 v59, v51, v12
	v_fma_f32 v51, v7, v12, -v13
	v_mul_lo_u16 v7, 0x87, v58
	v_fmac_f32_e32 v60, v16, v14
	v_fma_f32 v62, v25, v14, -v15
	v_mov_b32_e32 v13, 0
	v_lshlrev_b32_e32 v12, 1, v57
	s_waitcnt vmcnt(1)
	v_mul_f32_e32 v14, v17, v43
	v_sub_nc_u16 v65, v35, v7
	v_mul_f32_e32 v61, v26, v43
	v_mul_f32_e32 v16, v52, v41
	s_waitcnt lgkmcnt(0)
	v_mul_f32_e32 v63, v54, v41
	v_fma_f32 v66, v26, v42, -v14
	v_lshlrev_b64 v[14:15], 3, v[12:13]
	v_lshlrev_b32_sdwa v7, v18, v65 dst_sel:DWORD dst_unused:UNUSED_PAD src0_sel:DWORD src1_sel:WORD_0
	v_fmac_f32_e32 v61, v17, v42
	v_fma_f32 v12, v54, v40, -v16
	v_fmac_f32_e32 v63, v52, v40
	v_add_co_u32 v25, s0, s12, v14
	v_add_co_ci_u32_e64 v26, s0, s13, v15, s0
	global_load_dwordx4 v[14:17], v7, s[12:13] offset:1040
	s_waitcnt vmcnt(1)
	v_mul_f32_e32 v52, v55, v45
	v_mul_f32_e32 v27, v53, v45
	global_load_dwordx4 v[40:43], v[25:26], off offset:1040
	ds_read_b32 v7, v30 offset:13608
	v_cmp_lt_u32_e64 s0, 0x86, v36
	v_fmac_f32_e32 v52, v53, v44
	v_fma_f32 v44, v55, v44, -v27
	v_mul_f32_e32 v27, v64, v47
	s_waitcnt lgkmcnt(0)
	v_mul_f32_e32 v45, v7, v47
	v_fmac_f32_e32 v45, v64, v46
	v_fma_f32 v46, v7, v46, -v27
	ds_read2_b32 v[26:27], v33 offset0:6 offset1:249
	s_waitcnt vmcnt(1)
	v_mul_f32_e32 v7, v50, v15
	v_mul_f32_e32 v47, v6, v15
	v_lshlrev_b32_e32 v15, 2, v57
	v_sub_f32_e32 v57, v63, v61
	v_fma_f32 v53, v6, v14, -v7
	v_mul_f32_e32 v6, v49, v17
	v_fmac_f32_e32 v47, v50, v14
	s_waitcnt lgkmcnt(0)
	v_mul_f32_e32 v50, v27, v17
	s_waitcnt vmcnt(0)
	v_mul_f32_e32 v17, v1, v41
	v_cndmask_b32_e64 v14, 0, 0x654, s0
	v_fma_f32 v27, v27, v16, -v6
	ds_read2_b32 v[6:7], v32 offset0:12 offset1:255
	v_fmac_f32_e32 v50, v49, v16
	v_mul_f32_e32 v49, v26, v43
	v_mul_f32_e32 v16, v48, v43
	v_add3_u32 v25, 0, v14, v15
	v_lshlrev_b32_sdwa v43, v19, v65 dst_sel:DWORD dst_unused:UNUSED_PAD src0_sel:DWORD src1_sel:WORD_0
	v_sub_f32_e32 v55, v47, v50
	v_fmac_f32_e32 v49, v48, v42
	v_add_f32_e32 v48, v3, v47
	s_waitcnt lgkmcnt(0)
	v_mul_f32_e32 v54, v7, v41
	v_fmac_f32_e32 v54, v1, v40
	v_fma_f32 v1, v26, v42, -v16
	v_fma_f32 v26, v7, v40, -v17
	ds_read2_b32 v[16:17], v30 offset1:243
	ds_read2_b32 v[14:15], v28 offset0:6 offset1:249
	s_waitcnt lgkmcnt(0)
	v_add_f32_e32 v7, v54, v49
	v_add_f32_e32 v40, v2, v54
	v_sub_f32_e32 v41, v26, v1
	s_barrier
	buffer_gl0_inv
	v_fma_f32 v2, -0.5, v7, v2
	v_add_f32_e32 v7, v40, v49
	v_sub_f32_e32 v54, v54, v49
	v_add_f32_e32 v49, v63, v61
	v_fmamk_f32 v40, v41, 0xbf5db3d7, v2
	v_fmac_f32_e32 v2, 0x3f5db3d7, v41
	ds_write2_b32 v25, v7, v40 offset1:135
	v_mov_b32_e32 v7, 0x43a3
	ds_write_b32 v25, v2 offset:1080
	v_mul_u32_u24_sdwa v40, v39, v7 dst_sel:DWORD dst_unused:UNUSED_PAD src0_sel:WORD_0 src1_sel:DWORD
	v_mul_u32_u24_sdwa v7, v37, v7 dst_sel:DWORD dst_unused:UNUSED_PAD src0_sel:WORD_0 src1_sel:DWORD
	v_lshrrev_b32_e32 v40, 16, v40
	v_lshrrev_b32_e32 v7, 16, v7
	v_sub_nc_u16 v42, v39, v40
	v_lshrrev_b16 v42, 1, v42
	v_add_nc_u16 v40, v42, v40
	v_sub_nc_u16 v42, v37, v7
	v_lshrrev_b16 v42, 1, v42
	v_add_nc_u16 v42, v42, v7
	v_mul_u32_u24_e32 v7, 0x654, v58
	v_add_f32_e32 v58, v0, v52
	v_add3_u32 v43, 0, v7, v43
	v_lshrrev_b16 v7, 8, v40
	v_lshlrev_b32_sdwa v40, v19, v56 dst_sel:DWORD dst_unused:UNUSED_PAD src0_sel:DWORD src1_sel:WORD_0
	v_sub_f32_e32 v56, v59, v60
	v_mul_lo_u16 v7, 0x195, v7
	v_add3_u32 v24, 0, v24, v40
	v_add_f32_e32 v40, v47, v50
	v_add_f32_e32 v47, v48, v50
	v_add_f32_e32 v50, v5, v63
	v_fmac_f32_e32 v5, -0.5, v49
	v_add_f32_e32 v48, v59, v60
	v_fmac_f32_e32 v3, -0.5, v40
	v_add_f32_e32 v40, v4, v59
	v_add_f32_e32 v49, v50, v61
	;; [unrolled: 1-line block ×3, first 2 shown]
	v_sub_f32_e32 v52, v52, v45
	v_add_f32_e32 v45, v58, v45
	v_add_f32_e32 v40, v40, v60
	;; [unrolled: 1-line block ×3, first 2 shown]
	v_fmac_f32_e32 v0, -0.5, v50
	v_add_f32_e32 v50, v16, v26
	v_add_f32_e32 v26, v26, v1
	v_sub_nc_u16 v7, v39, v7
	v_lshrrev_b16 v63, 8, v42
	v_fma_f32 v4, -0.5, v48, v4
	v_add_f32_e32 v58, v50, v1
	v_add_f32_e32 v1, v53, v27
	;; [unrolled: 1-line block ×3, first 2 shown]
	v_and_b32_e32 v7, 0xffff, v7
	v_fma_f32 v16, -0.5, v26, v16
	v_fmac_f32_e32 v17, -0.5, v1
	v_sub_f32_e32 v1, v53, v27
	v_add_f32_e32 v27, v50, v27
	v_add_f32_e32 v50, v14, v51
	v_sub_f32_e32 v53, v51, v62
	v_add_f32_e32 v51, v12, v66
	v_lshlrev_b32_e32 v20, 4, v7
	v_fmamk_f32 v41, v1, 0xbf5db3d7, v3
	v_add_f32_e32 v60, v50, v62
	v_add_f32_e32 v50, v15, v12
	v_fmac_f32_e32 v15, -0.5, v51
	v_add_f32_e32 v51, v44, v46
	v_sub_f32_e32 v12, v12, v66
	v_fmamk_f32 v26, v54, 0x3f5db3d7, v16
	v_add_f32_e32 v61, v50, v66
	v_add_f32_e32 v50, v6, v44
	v_sub_f32_e32 v44, v44, v46
	v_add_co_u32 v20, s0, s12, v20
	v_fmac_f32_e32 v3, 0x3f5db3d7, v1
	v_add_f32_e32 v62, v50, v46
	v_fmamk_f32 v46, v44, 0xbf5db3d7, v0
	v_fmac_f32_e32 v0, 0x3f5db3d7, v44
	v_mul_lo_u16 v44, 0x195, v63
	v_fmamk_f32 v1, v53, 0xbf5db3d7, v4
	v_fma_f32 v14, -0.5, v59, v14
	v_add_co_ci_u32_e64 v21, null, s13, 0, s0
	v_sub_nc_u16 v64, v37, v44
	v_fmac_f32_e32 v6, -0.5, v51
	v_fmac_f32_e32 v4, 0x3f5db3d7, v53
	v_fmamk_f32 v42, v12, 0xbf5db3d7, v5
	v_fmac_f32_e32 v5, 0x3f5db3d7, v12
	v_lshlrev_b32_e32 v12, 1, v36
	v_lshlrev_b32_sdwa v18, v18, v64 dst_sel:DWORD dst_unused:UNUSED_PAD src0_sel:DWORD src1_sel:WORD_0
	v_fmac_f32_e32 v16, 0xbf5db3d7, v54
	ds_write2_b32 v43, v47, v41 offset1:135
	ds_write_b32 v43, v3 offset:1080
	ds_write2_b32 v23, v40, v1 offset1:135
	ds_write_b32 v23, v4 offset:1080
	;; [unrolled: 2-line block ×4, first 2 shown]
	s_waitcnt lgkmcnt(0)
	s_barrier
	buffer_gl0_inv
	ds_read2_b32 v[4:5], v30 offset1:243
	ds_read2_b32 v[0:1], v32 offset0:12 offset1:255
	ds_read2_b32 v[44:45], v33 offset0:6 offset1:249
	ds_read_b32 v65, v30 offset:13608
	ds_read2_b32 v[46:47], v29 offset0:2 offset1:245
	ds_read2_b32 v[2:3], v28 offset0:6 offset1:249
	;; [unrolled: 1-line block ×4, first 2 shown]
	s_waitcnt lgkmcnt(0)
	s_barrier
	buffer_gl0_inv
	ds_write2_b32 v25, v58, v26 offset1:135
	v_fmamk_f32 v26, v55, 0x3f5db3d7, v17
	v_add_co_u32 v20, s0, 0x800, v20
	v_fmac_f32_e32 v17, 0xbf5db3d7, v55
	v_fmamk_f32 v42, v56, 0x3f5db3d7, v14
	v_add_co_ci_u32_e64 v21, s0, 0, v21, s0
	v_lshlrev_b64 v[40:41], 3, v[12:13]
	v_add_nc_u32_e32 v12, 0xa2, v12
	v_fmac_f32_e32 v14, 0xbf5db3d7, v56
	v_fmamk_f32 v54, v52, 0x3f5db3d7, v6
	v_fmac_f32_e32 v6, 0xbf5db3d7, v52
	v_fmamk_f32 v53, v57, 0x3f5db3d7, v15
	v_fmac_f32_e32 v15, 0xbf5db3d7, v57
	ds_write_b32 v25, v16 offset:1080
	ds_write2_b32 v43, v27, v26 offset1:135
	ds_write_b32 v43, v17 offset:1080
	ds_write2_b32 v23, v60, v42 offset1:135
	;; [unrolled: 2-line block ×4, first 2 shown]
	ds_write_b32 v24, v6 offset:1080
	v_add_co_u32 v6, s0, s12, v18
	v_add_co_ci_u32_e64 v18, null, s13, 0, s0
	s_waitcnt lgkmcnt(0)
	s_barrier
	buffer_gl0_inv
	global_load_dwordx4 v[14:17], v[20:21], off offset:1152
	v_lshlrev_b64 v[20:21], 3, v[12:13]
	v_add_co_u32 v22, s0, 0x800, v6
	v_add_co_ci_u32_e64 v23, s0, 0, v18, s0
	v_add_nc_u32_e32 v60, 0xffffff5e, v36
	v_add_co_u32 v6, s0, s12, v20
	v_add_co_ci_u32_e64 v12, s0, s13, v21, s0
	global_load_dwordx4 v[20:23], v[22:23], off offset:1152
	v_add_co_u32 v24, s0, 0x800, v6
	v_add_co_ci_u32_e64 v25, s0, 0, v12, s0
	v_add_co_u32 v6, s0, s12, v40
	v_add_co_ci_u32_e64 v12, s0, s13, v41, s0
	global_load_dwordx4 v[24:27], v[24:25], off offset:1152
	v_add_co_u32 v40, s0, 0x800, v6
	v_add_co_ci_u32_e64 v41, s0, 0, v12, s0
	v_cmp_gt_u32_e64 s0, 0xa2, v36
	v_lshlrev_b32_sdwa v19, v19, v64 dst_sel:DWORD dst_unused:UNUSED_PAD src0_sel:DWORD src1_sel:WORD_0
	v_lshl_add_u32 v7, v7, 2, 0
	global_load_dwordx4 v[40:43], v[40:41], off offset:1152
	ds_read_b32 v18, v30 offset:13608
	ds_read2_b32 v[52:53], v34 offset0:8 offset1:251
	ds_read2_b32 v[54:55], v31 offset0:4 offset1:247
	;; [unrolled: 1-line block ×3, first 2 shown]
	s_waitcnt vmcnt(3) lgkmcnt(2)
	v_mul_f32_e32 v59, v53, v15
	v_mul_f32_e32 v15, v51, v15
	;; [unrolled: 1-line block ×4, first 2 shown]
	v_fmac_f32_e32 v59, v51, v14
	v_fma_f32 v51, v53, v14, -v15
	v_fmac_f32_e32 v58, v65, v16
	v_fma_f32 v61, v18, v16, -v17
	ds_read2_b32 v[17:18], v33 offset0:6 offset1:249
	s_waitcnt vmcnt(2)
	v_mul_f32_e32 v53, v52, v21
	v_mul_f32_e32 v14, v50, v21
	v_cndmask_b32_e64 v21, v60, v35, s0
	s_waitcnt lgkmcnt(2)
	v_mul_f32_e32 v60, v55, v23
	v_mul_f32_e32 v15, v49, v23
	v_fmac_f32_e32 v53, v50, v20
	v_fma_f32 v20, v52, v20, -v14
	v_lshlrev_b32_e32 v14, 1, v21
	v_fmac_f32_e32 v60, v49, v22
	v_fma_f32 v22, v55, v22, -v15
	v_mov_b32_e32 v15, v13
	s_waitcnt vmcnt(1)
	v_mul_f32_e32 v23, v54, v27
	v_mul_f32_e32 v16, v48, v27
	s_waitcnt lgkmcnt(1)
	v_mul_f32_e32 v27, v57, v25
	ds_read2_b32 v[49:50], v32 offset0:12 offset1:255
	v_lshlrev_b64 v[14:15], 3, v[14:15]
	v_fmac_f32_e32 v23, v48, v26
	v_fma_f32 v26, v54, v26, -v16
	v_mul_f32_e32 v16, v47, v25
	s_waitcnt vmcnt(0) lgkmcnt(1)
	v_mul_f32_e32 v25, v17, v43
	v_fmac_f32_e32 v27, v47, v24
	v_add_co_u32 v14, s0, s12, v14
	v_add_co_ci_u32_e64 v15, s0, s13, v15, s0
	v_fma_f32 v24, v57, v24, -v16
	v_add_co_u32 v14, s0, 0x800, v14
	v_mul_f32_e32 v16, v44, v43
	v_add_co_ci_u32_e64 v15, s0, 0, v15, s0
	v_fmac_f32_e32 v25, v44, v42
	v_cmp_lt_u32_e64 s0, 0xa1, v36
	v_fma_f32 v44, v17, v42, -v16
	global_load_dwordx4 v[14:17], v[14:15], off offset:1152
	s_waitcnt lgkmcnt(0)
	v_mul_f32_e32 v47, v50, v41
	v_mul_f32_e32 v41, v1, v41
	v_cndmask_b32_e64 v42, 0, 0x12fc, s0
	v_lshlrev_b32_e32 v21, 2, v21
	v_add_f32_e32 v57, v0, v59
	v_fmac_f32_e32 v47, v1, v40
	v_fma_f32 v1, v50, v40, -v41
	v_mov_b32_e32 v40, 0x12fc
	v_add3_u32 v48, 0, v42, v21
	v_lshl_add_u32 v52, v36, 2, 0
	v_mul_u32_u24_sdwa v43, v63, v40 dst_sel:DWORD dst_unused:UNUSED_PAD src0_sel:WORD_0 src1_sel:DWORD
	ds_read2_b32 v[40:41], v30 offset1:243
	v_add3_u32 v50, 0, v43, v19
	ds_read2_b32 v[42:43], v28 offset0:6 offset1:249
	v_sub_f32_e32 v19, v1, v44
	s_waitcnt vmcnt(0) lgkmcnt(0)
	s_barrier
	buffer_gl0_inv
	v_mul_f32_e32 v21, v56, v15
	v_mul_f32_e32 v15, v46, v15
	v_fmac_f32_e32 v21, v46, v14
	v_fma_f32 v14, v56, v14, -v15
	v_mul_f32_e32 v15, v18, v17
	v_mul_f32_e32 v17, v45, v17
	v_sub_f32_e32 v46, v47, v25
	v_add_f32_e32 v55, v41, v14
	v_fmac_f32_e32 v15, v45, v16
	v_fma_f32 v16, v18, v16, -v17
	v_add_f32_e32 v17, v4, v47
	v_add_f32_e32 v18, v47, v25
	;; [unrolled: 1-line block ×6, first 2 shown]
	v_sub_f32_e32 v21, v21, v15
	v_add_f32_e32 v15, v47, v15
	v_add_f32_e32 v47, v42, v24
	v_fmac_f32_e32 v41, -0.5, v56
	v_add_f32_e32 v56, v53, v60
	v_add_f32_e32 v17, v17, v25
	;; [unrolled: 1-line block ×4, first 2 shown]
	v_sub_f32_e32 v14, v14, v16
	v_add_f32_e32 v44, v45, v44
	v_add_f32_e32 v45, v27, v23
	v_fmac_f32_e32 v5, -0.5, v54
	v_sub_f32_e32 v54, v24, v26
	v_add_f32_e32 v24, v24, v26
	v_add_f32_e32 v55, v55, v16
	;; [unrolled: 1-line block ×5, first 2 shown]
	v_fmac_f32_e32 v3, -0.5, v56
	v_add_f32_e32 v56, v59, v58
	v_sub_f32_e32 v27, v27, v23
	v_add_f32_e32 v23, v25, v23
	v_add_f32_e32 v25, v43, v20
	v_fma_f32 v4, -0.5, v18, v4
	v_sub_f32_e32 v20, v20, v22
	v_fmac_f32_e32 v43, -0.5, v26
	v_sub_f32_e32 v26, v51, v61
	v_fmac_f32_e32 v0, -0.5, v56
	v_fma_f32 v1, -0.5, v1, v40
	v_fma_f32 v2, -0.5, v45, v2
	v_sub_f32_e32 v53, v53, v60
	v_add_f32_e32 v16, v16, v60
	v_add_f32_e32 v60, v25, v22
	;; [unrolled: 1-line block ×4, first 2 shown]
	v_fma_f32 v42, -0.5, v24, v42
	v_fmamk_f32 v18, v19, 0xbf5db3d7, v4
	v_fmac_f32_e32 v4, 0x3f5db3d7, v19
	v_fmamk_f32 v45, v46, 0x3f5db3d7, v1
	v_fmac_f32_e32 v1, 0xbf5db3d7, v46
	;; [unrolled: 2-line block ×4, first 2 shown]
	v_fmamk_f32 v14, v54, 0xbf5db3d7, v2
	v_fmamk_f32 v21, v20, 0xbf5db3d7, v3
	v_fmac_f32_e32 v3, 0x3f5db3d7, v20
	v_fmamk_f32 v20, v26, 0xbf5db3d7, v0
	v_add_f32_e32 v51, v57, v58
	v_add_f32_e32 v56, v22, v61
	v_fmac_f32_e32 v49, -0.5, v25
	v_fmac_f32_e32 v2, 0x3f5db3d7, v54
	v_fmamk_f32 v54, v27, 0x3f5db3d7, v42
	v_fmac_f32_e32 v42, 0xbf5db3d7, v27
	v_fmac_f32_e32 v0, 0x3f5db3d7, v26
	ds_write_b32 v30, v17
	ds_write_b32 v30, v18 offset:1620
	ds_write_b32 v30, v4 offset:3240
	ds_write_b32 v48, v15
	ds_write_b32 v48, v19 offset:1620
	ds_write_b32 v48, v5 offset:3240
	;; [unrolled: 1-line block ×5, first 2 shown]
	ds_write_b32 v50, v16
	ds_write_b32 v50, v21 offset:1620
	ds_write_b32 v50, v3 offset:3240
	;; [unrolled: 1-line block ×5, first 2 shown]
	s_waitcnt lgkmcnt(0)
	s_barrier
	buffer_gl0_inv
	ds_read2_b32 v[14:15], v30 offset1:243
	ds_read2_b32 v[22:23], v32 offset0:12 offset1:255
	ds_read2_b32 v[18:19], v33 offset0:6 offset1:249
	ds_read2_b32 v[20:21], v29 offset0:2 offset1:245
	ds_read2_b32 v[16:17], v28 offset0:6 offset1:249
	ds_read2_b32 v[24:25], v31 offset0:4 offset1:247
	ds_read2_b32 v[26:27], v34 offset0:8 offset1:251
	ds_read_b32 v40, v30 offset:13608
	v_sub_f32_e32 v59, v59, v58
	v_fmamk_f32 v57, v53, 0x3f5db3d7, v43
	v_fmac_f32_e32 v43, 0xbf5db3d7, v53
	s_waitcnt lgkmcnt(0)
	s_barrier
	v_fmamk_f32 v53, v59, 0x3f5db3d7, v49
	v_fmac_f32_e32 v49, 0xbf5db3d7, v59
	buffer_gl0_inv
	ds_write_b32 v30, v44
	ds_write_b32 v30, v45 offset:1620
	ds_write_b32 v30, v1 offset:3240
	ds_write_b32 v48, v55
	ds_write_b32 v48, v46 offset:1620
	ds_write_b32 v48, v41 offset:3240
	;; [unrolled: 1-line block ×5, first 2 shown]
	ds_write_b32 v50, v60
	ds_write_b32 v50, v57 offset:1620
	ds_write_b32 v50, v43 offset:3240
	;; [unrolled: 1-line block ×5, first 2 shown]
	s_waitcnt lgkmcnt(0)
	s_barrier
	buffer_gl0_inv
	s_and_saveexec_b32 s0, vcc_lo
	s_cbranch_execz .LBB0_15
; %bb.14:
	v_add_co_u32 v0, vcc_lo, 0x2000, v6
	v_add_co_ci_u32_e32 v1, vcc_lo, 0, v12, vcc_lo
	v_lshlrev_b32_e32 v12, 1, v39
	v_mul_lo_u32 v39, s2, v11
	v_mul_hi_u32 v55, 0x1af83441, v36
	global_load_dwordx4 v[41:44], v[0:1], off offset:1488
	v_lshlrev_b64 v[8:9], 3, v[8:9]
	v_lshlrev_b64 v[0:1], 3, v[12:13]
	v_lshlrev_b32_e32 v12, 1, v37
	v_add_nc_u32_e32 v56, 0x1e6, v36
	v_add_co_u32 v0, vcc_lo, s12, v0
	v_add_co_ci_u32_e32 v1, vcc_lo, s13, v1, vcc_lo
	v_add_co_u32 v0, vcc_lo, 0x2000, v0
	v_add_co_ci_u32_e32 v1, vcc_lo, 0, v1, vcc_lo
	global_load_dwordx4 v[45:48], v[0:1], off offset:1488
	v_lshlrev_b64 v[0:1], 3, v[12:13]
	v_lshlrev_b32_e32 v12, 1, v38
	v_lshlrev_b64 v[4:5], 3, v[12:13]
	v_add_co_u32 v0, vcc_lo, s12, v0
	v_add_co_ci_u32_e32 v1, vcc_lo, s13, v1, vcc_lo
	v_lshlrev_b32_e32 v12, 1, v35
	v_add_co_u32 v0, vcc_lo, 0x2000, v0
	v_add_co_ci_u32_e32 v1, vcc_lo, 0, v1, vcc_lo
	v_add_co_u32 v4, vcc_lo, s12, v4
	v_add_co_ci_u32_e32 v5, vcc_lo, s13, v5, vcc_lo
	global_load_dwordx4 v[0:3], v[0:1], off offset:1488
	v_add_co_u32 v4, vcc_lo, 0x2000, v4
	v_add_co_ci_u32_e32 v5, vcc_lo, 0, v5, vcc_lo
	v_lshlrev_b64 v[37:38], 3, v[12:13]
	global_load_dwordx4 v[4:7], v[4:5], off offset:1488
	v_add_co_u32 v12, vcc_lo, s12, v37
	v_add_co_ci_u32_e32 v35, vcc_lo, s13, v38, vcc_lo
	v_add_co_u32 v37, vcc_lo, 0x2000, v12
	v_add_co_ci_u32_e32 v38, vcc_lo, 0, v35, vcc_lo
	v_mul_lo_u32 v35, s3, v10
	v_mad_u64_u32 v[10:11], null, s2, v10, 0
	global_load_dwordx4 v[49:52], v[37:38], off offset:1488
	ds_read2_b32 v[37:38], v32 offset0:12 offset1:255
	ds_read2_b32 v[32:33], v33 offset0:6 offset1:249
	v_add_nc_u32_e32 v12, 0xf3, v36
	ds_read_b32 v54, v30 offset:13608
	v_add3_u32 v11, v11, v39, v35
	v_mul_hi_u32 v53, 0x1af83441, v12
	v_lshlrev_b64 v[10:11], 3, v[10:11]
	v_lshrrev_b32_e32 v39, 7, v53
	s_waitcnt vmcnt(4)
	v_mul_f32_e32 v35, v23, v42
	v_mul_f32_e32 v53, v18, v44
	s_waitcnt lgkmcnt(1)
	v_mul_f32_e32 v44, v32, v44
	v_mul_f32_e32 v42, v38, v42
	v_fma_f32 v38, v41, v38, -v35
	ds_read2_b32 v[34:35], v34 offset0:8 offset1:251
	v_fma_f32 v32, v43, v32, -v53
	v_fmac_f32_e32 v44, v18, v43
	v_add_co_u32 v43, vcc_lo, s10, v10
	v_fmac_f32_e32 v42, v23, v41
	v_lshrrev_b32_e32 v23, 7, v55
	v_add_co_ci_u32_e32 v53, vcc_lo, s11, v11, vcc_lo
	ds_read2_b32 v[10:11], v30 offset1:243
	v_add_co_u32 v57, vcc_lo, v43, v8
	v_mul_u32_u24_e32 v23, 0x4bf, v23
	v_mul_u32_u24_e32 v41, 0x4bf, v39
	v_add_co_ci_u32_e32 v53, vcc_lo, v53, v9, vcc_lo
	s_waitcnt vmcnt(3)
	v_mul_f32_e32 v8, v40, v48
	v_sub_nc_u32_e32 v23, v36, v23
	s_waitcnt lgkmcnt(2)
	v_mul_f32_e32 v48, v54, v48
	v_mul_hi_u32 v18, 0x1af83441, v56
	v_sub_nc_u32_e32 v12, v12, v41
	v_fma_f32 v54, v47, v54, -v8
	v_lshlrev_b32_e32 v9, 3, v23
	v_mul_f32_e32 v23, v27, v46
	s_waitcnt lgkmcnt(1)
	v_mul_f32_e32 v46, v35, v46
	v_fmac_f32_e32 v48, v40, v47
	v_add_f32_e32 v30, v42, v44
	v_add_co_u32 v8, vcc_lo, v57, v9
	v_fma_f32 v47, v45, v35, -v23
	v_fmac_f32_e32 v46, v27, v45
	s_waitcnt lgkmcnt(0)
	v_add_f32_e32 v23, v10, v38
	v_add_f32_e32 v27, v14, v42
	;; [unrolled: 1-line block ×3, first 2 shown]
	v_lshrrev_b32_e32 v18, 7, v18
	v_mad_u32_u24 v12, 0xe3d, v39, v12
	v_add_co_ci_u32_e32 v9, vcc_lo, 0, v53, vcc_lo
	v_sub_f32_e32 v45, v42, v44
	v_sub_f32_e32 v59, v38, v32
	v_add_f32_e32 v39, v23, v32
	v_add_f32_e32 v38, v27, v44
	v_fma_f32 v41, -0.5, v35, v10
	v_fma_f32 v40, -0.5, v30, v14
	ds_read2_b32 v[30:31], v31 offset0:4 offset1:247
	v_add_nc_u32_e32 v55, 0x2d9, v36
	v_add_co_u32 v42, vcc_lo, 0x2000, v8
	v_mul_u32_u24_e32 v58, 0x4bf, v18
	v_add_co_ci_u32_e32 v43, vcc_lo, 0, v9, vcc_lo
	global_store_dwordx2 v[8:9], v[38:39], off
	v_fmamk_f32 v39, v45, 0xbf5db3d7, v41
	v_fmac_f32_e32 v41, 0x3f5db3d7, v45
	v_fmamk_f32 v38, v59, 0x3f5db3d7, v40
	v_fmac_f32_e32 v40, 0xbf5db3d7, v59
	v_mul_hi_u32 v14, 0x1af83441, v55
	v_add_co_u32 v8, vcc_lo, 0x4800, v8
	v_add_co_ci_u32_e32 v9, vcc_lo, 0, v9, vcc_lo
	v_add_nc_u32_e32 v10, 0x3cc, v36
	v_sub_nc_u32_e32 v23, v56, v58
	global_store_dwordx2 v[42:43], v[40:41], off offset:1528
	v_lshlrev_b64 v[35:36], 3, v[12:13]
	v_add_nc_u32_e32 v40, 0x4bf, v12
	v_add_nc_u32_e32 v12, 0x97e, v12
	ds_read2_b32 v[42:43], v29 offset0:2 offset1:245
	global_store_dwordx2 v[8:9], v[38:39], off offset:1008
	v_lshrrev_b32_e32 v14, 7, v14
	s_waitcnt vmcnt(2)
	v_mul_f32_e32 v44, v34, v1
	v_lshlrev_b64 v[8:9], 3, v[12:13]
	v_mad_u32_u24 v12, 0xe3d, v18, v23
	v_mul_f32_e32 v18, v26, v1
	v_mul_hi_u32 v27, 0x1af83441, v10
	v_mul_u32_u24_e32 v23, 0x4bf, v14
	v_fmac_f32_e32 v44, v26, v0
	v_mov_b32_e32 v41, v13
	v_fma_f32 v18, v0, v34, -v18
	v_mul_f32_e32 v0, v25, v3
	s_waitcnt lgkmcnt(1)
	v_mul_f32_e32 v34, v31, v3
	v_sub_nc_u32_e32 v23, v55, v23
	v_lshrrev_b32_e32 v38, 7, v27
	s_waitcnt vmcnt(1)
	v_mul_f32_e32 v55, v30, v7
	v_fma_f32 v45, v2, v31, -v0
	v_fmac_f32_e32 v34, v25, v2
	v_lshlrev_b64 v[2:3], 3, v[12:13]
	v_add_nc_u32_e32 v0, 0x4bf, v12
	v_add_nc_u32_e32 v12, 0x97e, v12
	s_waitcnt lgkmcnt(0)
	v_mul_f32_e32 v56, v43, v5
	v_fmac_f32_e32 v55, v24, v6
	v_lshlrev_b64 v[26:27], 3, v[40:41]
	v_add_co_u32 v35, vcc_lo, v57, v35
	v_lshlrev_b64 v[31:32], 3, v[12:13]
	v_mad_u32_u24 v12, 0xe3d, v14, v23
	v_mul_f32_e32 v14, v24, v7
	v_mul_u32_u24_e32 v7, 0x4bf, v38
	v_mul_f32_e32 v23, v21, v5
	v_fmac_f32_e32 v56, v21, v4
	v_mov_b32_e32 v1, v13
	v_fma_f32 v14, v6, v30, -v14
	v_sub_nc_u32_e32 v10, v10, v7
	v_fma_f32 v58, v4, v43, -v23
	v_lshlrev_b64 v[6:7], 3, v[12:13]
	v_add_nc_u32_e32 v4, 0x4bf, v12
	v_add_nc_u32_e32 v12, 0x97e, v12
	v_add_co_ci_u32_e32 v36, vcc_lo, v53, v36, vcc_lo
	v_add_co_u32 v25, vcc_lo, v57, v26
	v_lshlrev_b64 v[29:30], 3, v[12:13]
	v_mad_u32_u24 v12, 0xe3d, v38, v10
	v_add_f32_e32 v10, v47, v54
	v_add_co_ci_u32_e32 v26, vcc_lo, v53, v27, vcc_lo
	v_add_co_u32 v8, vcc_lo, v57, v8
	v_fma_f32 v41, -0.5, v10, v37
	v_add_f32_e32 v10, v46, v48
	v_lshlrev_b64 v[0:1], 3, v[0:1]
	v_add_co_ci_u32_e32 v9, vcc_lo, v53, v9, vcc_lo
	v_add_co_u32 v2, vcc_lo, v57, v2
	v_fma_f32 v40, -0.5, v10, v22
	v_add_f32_e32 v10, v22, v46
	ds_read2_b32 v[21:22], v28 offset0:6 offset1:249
	v_mov_b32_e32 v5, v13
	v_add_f32_e32 v43, v37, v47
	v_add_co_ci_u32_e32 v3, vcc_lo, v53, v3, vcc_lo
	v_add_co_u32 v0, vcc_lo, v57, v0
	v_add_co_ci_u32_e32 v1, vcc_lo, v53, v1, vcc_lo
	v_add_co_u32 v23, vcc_lo, v57, v31
	v_lshlrev_b64 v[4:5], 3, v[4:5]
	v_sub_f32_e32 v37, v46, v48
	v_add_f32_e32 v27, v10, v48
	v_add_f32_e32 v28, v43, v54
	s_waitcnt vmcnt(0)
	v_mul_f32_e32 v10, v20, v50
	v_sub_f32_e32 v43, v47, v54
	v_mul_f32_e32 v46, v19, v52
	v_mul_f32_e32 v47, v42, v50
	v_add_co_ci_u32_e32 v24, vcc_lo, v53, v32, vcc_lo
	v_add_co_u32 v6, vcc_lo, v57, v6
	v_mov_b32_e32 v39, v13
	v_add_nc_u32_e32 v38, 0x4bf, v12
	v_add_co_ci_u32_e32 v7, vcc_lo, v53, v7, vcc_lo
	v_fma_f32 v10, v49, v42, -v10
	v_mul_f32_e32 v48, v33, v52
	v_fma_f32 v46, v51, v33, -v46
	v_add_f32_e32 v33, v17, v44
	v_fmac_f32_e32 v47, v20, v49
	v_add_f32_e32 v49, v18, v45
	v_add_co_u32 v4, vcc_lo, v57, v4
	v_lshlrev_b64 v[31:32], 3, v[12:13]
	v_add_nc_u32_e32 v12, 0x97e, v12
	v_add_co_ci_u32_e32 v5, vcc_lo, v53, v5, vcc_lo
	v_add_co_u32 v29, vcc_lo, v57, v29
	v_lshlrev_b64 v[38:39], 3, v[38:39]
	s_waitcnt lgkmcnt(0)
	v_add_f32_e32 v42, v22, v18
	v_sub_f32_e32 v20, v44, v34
	v_add_f32_e32 v44, v44, v34
	v_sub_f32_e32 v50, v18, v45
	v_fmac_f32_e32 v48, v19, v51
	v_add_f32_e32 v18, v33, v34
	v_fmamk_f32 v34, v37, 0xbf5db3d7, v41
	v_fmac_f32_e32 v41, 0x3f5db3d7, v37
	v_fmamk_f32 v33, v43, 0x3f5db3d7, v40
	v_fmac_f32_e32 v40, 0xbf5db3d7, v43
	v_fma_f32 v43, -0.5, v49, v22
	v_add_f32_e32 v22, v21, v58
	v_add_f32_e32 v37, v56, v55
	v_add_co_ci_u32_e32 v30, vcc_lo, v53, v30, vcc_lo
	v_add_co_u32 v31, vcc_lo, v57, v31
	v_lshlrev_b64 v[12:13], 3, v[12:13]
	v_add_co_ci_u32_e32 v32, vcc_lo, v53, v32, vcc_lo
	v_add_co_u32 v38, vcc_lo, v57, v38
	v_add_f32_e32 v19, v42, v45
	v_fma_f32 v42, -0.5, v44, v17
	v_add_f32_e32 v17, v58, v14
	v_add_f32_e32 v44, v16, v56
	v_fma_f32 v16, -0.5, v37, v16
	v_add_f32_e32 v37, v10, v46
	v_add_f32_e32 v45, v22, v14
	;; [unrolled: 1-line block ×3, first 2 shown]
	v_add_co_ci_u32_e32 v39, vcc_lo, v53, v39, vcc_lo
	v_add_co_u32 v12, vcc_lo, v57, v12
	v_sub_f32_e32 v52, v58, v14
	v_add_f32_e32 v14, v11, v10
	v_add_f32_e32 v49, v15, v47
	v_add_co_ci_u32_e32 v13, vcc_lo, v53, v13, vcc_lo
	v_fma_f32 v17, -0.5, v17, v21
	v_fmamk_f32 v21, v20, 0xbf5db3d7, v43
	v_fmac_f32_e32 v43, 0x3f5db3d7, v20
	v_fmamk_f32 v20, v50, 0x3f5db3d7, v42
	v_fmac_f32_e32 v42, 0xbf5db3d7, v50
	v_sub_f32_e32 v50, v47, v48
	v_sub_f32_e32 v53, v10, v46
	v_fma_f32 v11, -0.5, v37, v11
	v_fma_f32 v10, -0.5, v22, v15
	v_sub_f32_e32 v51, v56, v55
	v_add_f32_e32 v47, v14, v46
	v_add_f32_e32 v46, v49, v48
	v_fmamk_f32 v49, v50, 0xbf5db3d7, v11
	v_fmac_f32_e32 v11, 0x3f5db3d7, v50
	v_fmamk_f32 v48, v53, 0x3f5db3d7, v10
	v_fmac_f32_e32 v10, 0xbf5db3d7, v53
	v_add_f32_e32 v44, v44, v55
	v_fmamk_f32 v15, v51, 0xbf5db3d7, v17
	v_fmac_f32_e32 v17, 0x3f5db3d7, v51
	v_fmamk_f32 v14, v52, 0x3f5db3d7, v16
	v_fmac_f32_e32 v16, 0xbf5db3d7, v52
	global_store_dwordx2 v[35:36], v[46:47], off
	global_store_dwordx2 v[25:26], v[10:11], off
	;; [unrolled: 1-line block ×12, first 2 shown]
.LBB0_15:
	s_endpgm
	.section	.rodata,"a",@progbits
	.p2align	6, 0x0
	.amdhsa_kernel fft_rtc_back_len3645_factors_5_3_3_3_3_3_3_wgs_243_tpt_243_halfLds_sp_op_CI_CI_unitstride_sbrr_dirReg
		.amdhsa_group_segment_fixed_size 0
		.amdhsa_private_segment_fixed_size 0
		.amdhsa_kernarg_size 104
		.amdhsa_user_sgpr_count 6
		.amdhsa_user_sgpr_private_segment_buffer 1
		.amdhsa_user_sgpr_dispatch_ptr 0
		.amdhsa_user_sgpr_queue_ptr 0
		.amdhsa_user_sgpr_kernarg_segment_ptr 1
		.amdhsa_user_sgpr_dispatch_id 0
		.amdhsa_user_sgpr_flat_scratch_init 0
		.amdhsa_user_sgpr_private_segment_size 0
		.amdhsa_wavefront_size32 1
		.amdhsa_uses_dynamic_stack 0
		.amdhsa_system_sgpr_private_segment_wavefront_offset 0
		.amdhsa_system_sgpr_workgroup_id_x 1
		.amdhsa_system_sgpr_workgroup_id_y 0
		.amdhsa_system_sgpr_workgroup_id_z 0
		.amdhsa_system_sgpr_workgroup_info 0
		.amdhsa_system_vgpr_workitem_id 0
		.amdhsa_next_free_vgpr 67
		.amdhsa_next_free_sgpr 27
		.amdhsa_reserve_vcc 1
		.amdhsa_reserve_flat_scratch 0
		.amdhsa_float_round_mode_32 0
		.amdhsa_float_round_mode_16_64 0
		.amdhsa_float_denorm_mode_32 3
		.amdhsa_float_denorm_mode_16_64 3
		.amdhsa_dx10_clamp 1
		.amdhsa_ieee_mode 1
		.amdhsa_fp16_overflow 0
		.amdhsa_workgroup_processor_mode 1
		.amdhsa_memory_ordered 1
		.amdhsa_forward_progress 0
		.amdhsa_shared_vgpr_count 0
		.amdhsa_exception_fp_ieee_invalid_op 0
		.amdhsa_exception_fp_denorm_src 0
		.amdhsa_exception_fp_ieee_div_zero 0
		.amdhsa_exception_fp_ieee_overflow 0
		.amdhsa_exception_fp_ieee_underflow 0
		.amdhsa_exception_fp_ieee_inexact 0
		.amdhsa_exception_int_div_zero 0
	.end_amdhsa_kernel
	.text
.Lfunc_end0:
	.size	fft_rtc_back_len3645_factors_5_3_3_3_3_3_3_wgs_243_tpt_243_halfLds_sp_op_CI_CI_unitstride_sbrr_dirReg, .Lfunc_end0-fft_rtc_back_len3645_factors_5_3_3_3_3_3_3_wgs_243_tpt_243_halfLds_sp_op_CI_CI_unitstride_sbrr_dirReg
                                        ; -- End function
	.section	.AMDGPU.csdata,"",@progbits
; Kernel info:
; codeLenInByte = 11796
; NumSgprs: 29
; NumVgprs: 67
; ScratchSize: 0
; MemoryBound: 0
; FloatMode: 240
; IeeeMode: 1
; LDSByteSize: 0 bytes/workgroup (compile time only)
; SGPRBlocks: 3
; VGPRBlocks: 8
; NumSGPRsForWavesPerEU: 29
; NumVGPRsForWavesPerEU: 67
; Occupancy: 12
; WaveLimiterHint : 1
; COMPUTE_PGM_RSRC2:SCRATCH_EN: 0
; COMPUTE_PGM_RSRC2:USER_SGPR: 6
; COMPUTE_PGM_RSRC2:TRAP_HANDLER: 0
; COMPUTE_PGM_RSRC2:TGID_X_EN: 1
; COMPUTE_PGM_RSRC2:TGID_Y_EN: 0
; COMPUTE_PGM_RSRC2:TGID_Z_EN: 0
; COMPUTE_PGM_RSRC2:TIDIG_COMP_CNT: 0
	.text
	.p2alignl 6, 3214868480
	.fill 48, 4, 3214868480
	.type	__hip_cuid_3c429349635feee1,@object ; @__hip_cuid_3c429349635feee1
	.section	.bss,"aw",@nobits
	.globl	__hip_cuid_3c429349635feee1
__hip_cuid_3c429349635feee1:
	.byte	0                               ; 0x0
	.size	__hip_cuid_3c429349635feee1, 1

	.ident	"AMD clang version 19.0.0git (https://github.com/RadeonOpenCompute/llvm-project roc-6.4.0 25133 c7fe45cf4b819c5991fe208aaa96edf142730f1d)"
	.section	".note.GNU-stack","",@progbits
	.addrsig
	.addrsig_sym __hip_cuid_3c429349635feee1
	.amdgpu_metadata
---
amdhsa.kernels:
  - .args:
      - .actual_access:  read_only
        .address_space:  global
        .offset:         0
        .size:           8
        .value_kind:     global_buffer
      - .offset:         8
        .size:           8
        .value_kind:     by_value
      - .actual_access:  read_only
        .address_space:  global
        .offset:         16
        .size:           8
        .value_kind:     global_buffer
      - .actual_access:  read_only
        .address_space:  global
        .offset:         24
        .size:           8
        .value_kind:     global_buffer
      - .actual_access:  read_only
        .address_space:  global
        .offset:         32
        .size:           8
        .value_kind:     global_buffer
      - .offset:         40
        .size:           8
        .value_kind:     by_value
      - .actual_access:  read_only
        .address_space:  global
        .offset:         48
        .size:           8
        .value_kind:     global_buffer
      - .actual_access:  read_only
        .address_space:  global
        .offset:         56
        .size:           8
        .value_kind:     global_buffer
      - .offset:         64
        .size:           4
        .value_kind:     by_value
      - .actual_access:  read_only
        .address_space:  global
        .offset:         72
        .size:           8
        .value_kind:     global_buffer
      - .actual_access:  read_only
        .address_space:  global
        .offset:         80
        .size:           8
        .value_kind:     global_buffer
      - .actual_access:  read_only
        .address_space:  global
        .offset:         88
        .size:           8
        .value_kind:     global_buffer
      - .actual_access:  write_only
        .address_space:  global
        .offset:         96
        .size:           8
        .value_kind:     global_buffer
    .group_segment_fixed_size: 0
    .kernarg_segment_align: 8
    .kernarg_segment_size: 104
    .language:       OpenCL C
    .language_version:
      - 2
      - 0
    .max_flat_workgroup_size: 243
    .name:           fft_rtc_back_len3645_factors_5_3_3_3_3_3_3_wgs_243_tpt_243_halfLds_sp_op_CI_CI_unitstride_sbrr_dirReg
    .private_segment_fixed_size: 0
    .sgpr_count:     29
    .sgpr_spill_count: 0
    .symbol:         fft_rtc_back_len3645_factors_5_3_3_3_3_3_3_wgs_243_tpt_243_halfLds_sp_op_CI_CI_unitstride_sbrr_dirReg.kd
    .uniform_work_group_size: 1
    .uses_dynamic_stack: false
    .vgpr_count:     67
    .vgpr_spill_count: 0
    .wavefront_size: 32
    .workgroup_processor_mode: 1
amdhsa.target:   amdgcn-amd-amdhsa--gfx1030
amdhsa.version:
  - 1
  - 2
...

	.end_amdgpu_metadata
